;; amdgpu-corpus repo=ROCm/rocFFT kind=compiled arch=gfx1100 opt=O3
	.text
	.amdgcn_target "amdgcn-amd-amdhsa--gfx1100"
	.amdhsa_code_object_version 6
	.protected	bluestein_single_back_len1404_dim1_dp_op_CI_CI ; -- Begin function bluestein_single_back_len1404_dim1_dp_op_CI_CI
	.globl	bluestein_single_back_len1404_dim1_dp_op_CI_CI
	.p2align	8
	.type	bluestein_single_back_len1404_dim1_dp_op_CI_CI,@function
bluestein_single_back_len1404_dim1_dp_op_CI_CI: ; @bluestein_single_back_len1404_dim1_dp_op_CI_CI
; %bb.0:
	s_load_b128 s[16:19], s[0:1], 0x28
	v_mul_u32_u24_e32 v1, 0x231, v0
	s_mov_b32 s2, exec_lo
	v_mov_b32_e32 v16, 0
	s_delay_alu instid0(VALU_DEP_2) | instskip(NEXT) | instid1(VALU_DEP_1)
	v_lshrrev_b32_e32 v1, 16, v1
	v_add_nc_u32_e32 v15, s15, v1
	s_waitcnt lgkmcnt(0)
	s_delay_alu instid0(VALU_DEP_1)
	v_cmpx_gt_u64_e64 s[16:17], v[15:16]
	s_cbranch_execz .LBB0_10
; %bb.1:
	s_clause 0x1
	s_load_b128 s[4:7], s[0:1], 0x18
	s_load_b128 s[8:11], s[0:1], 0x0
	v_mul_lo_u16 v1, 0x75, v1
	v_mov_b32_e32 v11, v15
	s_delay_alu instid0(VALU_DEP_2) | instskip(NEXT) | instid1(VALU_DEP_1)
	v_sub_nc_u16 v0, v0, v1
	v_and_b32_e32 v214, 0xffff, v0
	s_delay_alu instid0(VALU_DEP_1)
	v_lshlrev_b32_e32 v255, 4, v214
	v_add_co_u32 v178, null, 0x15f, v214
	s_waitcnt lgkmcnt(0)
	s_load_b128 s[12:15], s[4:5], 0x0
	s_clause 0x2
	global_load_b128 v[31:34], v255, s[8:9]
	global_load_b128 v[35:38], v255, s[8:9] offset:1872
	global_load_b128 v[39:42], v255, s[8:9] offset:3744
	v_add_co_u32 v13, s2, s8, v255
	s_delay_alu instid0(VALU_DEP_1)
	v_add_co_ci_u32_e64 v14, null, s9, 0, s2
	scratch_store_b64 off, v[11:12], off offset:64 ; 8-byte Folded Spill
	v_add_co_u32 v17, vcc_lo, 0x2000, v13
	v_add_co_ci_u32_e32 v18, vcc_lo, 0, v14, vcc_lo
	v_add_co_u32 v3, vcc_lo, 0x3000, v13
	v_add_co_ci_u32_e32 v4, vcc_lo, 0, v14, vcc_lo
	;; [unrolled: 2-line block ×3, first 2 shown]
	s_waitcnt lgkmcnt(0)
	v_mad_u64_u32 v[1:2], null, s14, v15, 0
	v_mad_u64_u32 v[5:6], null, s12, v214, 0
	v_add_co_u32 v9, vcc_lo, 0x4000, v13
	v_add_co_ci_u32_e32 v10, vcc_lo, 0, v14, vcc_lo
	s_delay_alu instid0(VALU_DEP_4) | instskip(SKIP_3) | instid1(VALU_DEP_4)
	v_mad_u64_u32 v[11:12], null, s15, v15, v[2:3]
	v_add_co_u32 v19, vcc_lo, 0x5000, v13
	v_mad_u64_u32 v[12:13], null, s13, v214, v[6:7]
	v_add_co_ci_u32_e32 v20, vcc_lo, 0, v14, vcc_lo
	v_mov_b32_e32 v2, v11
	s_clause 0x2
	global_load_b128 v[118:121], v[17:18], off offset:3040
	global_load_b128 v[114:117], v[3:4], off offset:816
	;; [unrolled: 1-line block ×3, first 2 shown]
	s_mul_i32 s2, s13, 0x2be0
	s_mul_hi_u32 s3, s12, 0x2be0
	v_mov_b32_e32 v6, v12
	v_lshlrev_b64 v[1:2], 4, v[1:2]
	s_mul_i32 s4, s12, 0x2be0
	s_add_i32 s3, s3, s2
	s_mul_i32 s5, s13, 0xffffdb70
	v_lshlrev_b64 v[3:4], 4, v[5:6]
	s_mul_hi_u32 s13, s12, 0xffffdb70
	v_add_co_u32 v1, vcc_lo, s18, v1
	v_add_co_ci_u32_e32 v2, vcc_lo, s19, v2, vcc_lo
	s_mul_i32 s14, s12, 0xffffdb70
	s_delay_alu instid0(VALU_DEP_2) | instskip(NEXT) | instid1(VALU_DEP_2)
	v_add_co_u32 v1, vcc_lo, v1, v3
	v_add_co_ci_u32_e32 v2, vcc_lo, v2, v4, vcc_lo
	s_sub_i32 s2, s13, s12
	s_delay_alu instid0(VALU_DEP_2) | instskip(NEXT) | instid1(VALU_DEP_2)
	v_add_co_u32 v5, vcc_lo, v1, s4
	v_add_co_ci_u32_e32 v6, vcc_lo, s3, v2, vcc_lo
	s_add_i32 s2, s2, s5
	s_delay_alu instid0(VALU_DEP_2) | instskip(NEXT) | instid1(VALU_DEP_2)
	v_add_co_u32 v11, vcc_lo, v5, s14
	v_add_co_ci_u32_e32 v12, vcc_lo, s2, v6, vcc_lo
	s_clause 0x1
	global_load_b128 v[130:133], v[7:8], off offset:1520
	global_load_b128 v[122:125], v[7:8], off offset:3392
	v_add_co_u32 v13, vcc_lo, v11, s4
	v_add_co_ci_u32_e32 v14, vcc_lo, s3, v12, vcc_lo
	s_clause 0x1
	global_load_b128 v[134:137], v[9:10], off offset:464
	global_load_b128 v[126:129], v[9:10], off offset:2336
	v_add_co_u32 v21, vcc_lo, v13, s14
	v_add_co_ci_u32_e32 v22, vcc_lo, s2, v14, vcc_lo
	s_clause 0x1
	global_load_b128 v[1:4], v[1:2], off
	global_load_b128 v[5:8], v[5:6], off
	v_add_co_u32 v23, vcc_lo, v21, s4
	v_add_co_ci_u32_e32 v24, vcc_lo, s3, v22, vcc_lo
	s_clause 0x1
	global_load_b128 v[9:12], v[11:12], off
	global_load_b128 v[13:16], v[13:14], off
	v_add_co_u32 v25, vcc_lo, v23, s14
	v_add_co_ci_u32_e32 v26, vcc_lo, s2, v24, vcc_lo
	global_load_b128 v[48:51], v[21:22], off
	v_add_co_u32 v21, vcc_lo, v25, s4
	v_add_co_ci_u32_e32 v22, vcc_lo, s3, v26, vcc_lo
	;; [unrolled: 3-line block ×6, first 2 shown]
	global_load_b128 v[68:71], v[25:26], off
	global_load_b128 v[138:141], v[17:18], off offset:1168
	global_load_b128 v[72:75], v[21:22], off
	global_load_b128 v[142:145], v[19:20], off offset:112
	global_load_b128 v[76:79], v[23:24], off
	s_load_b128 s[4:7], s[6:7], 0x0
	v_add_co_u32 v241, s2, 0x75, v214
	v_lshlrev_b32_e32 v212, 5, v214
	s_mov_b32 s13, 0xbfebb67a
	v_cmp_gt_u16_e32 vcc_lo, 0x6c, v0
	s_waitcnt vmcnt(23)
	scratch_store_b128 off, v[31:34], off offset:16 ; 16-byte Folded Spill
	s_waitcnt vmcnt(22)
	scratch_store_b128 off, v[35:38], off offset:32 ; 16-byte Folded Spill
	;; [unrolled: 2-line block ×10, first 2 shown]
	s_waitcnt vmcnt(13)
	v_mul_f64 v[17:18], v[3:4], v[33:34]
	v_mul_f64 v[19:20], v[1:2], v[33:34]
	s_waitcnt vmcnt(12)
	v_mul_f64 v[21:22], v[7:8], v[120:121]
	v_mul_f64 v[23:24], v[5:6], v[120:121]
	v_and_b32_e32 v33, 1, v178
	s_waitcnt vmcnt(11)
	v_mul_f64 v[25:26], v[11:12], v[37:38]
	v_mul_f64 v[27:28], v[9:10], v[37:38]
	s_waitcnt vmcnt(10)
	v_mul_f64 v[29:30], v[15:16], v[116:117]
	v_mul_f64 v[80:81], v[13:14], v[116:117]
	v_and_b32_e32 v34, 1, v241
	s_waitcnt vmcnt(9)
	v_mul_f64 v[82:83], v[50:51], v[41:42]
	v_mul_f64 v[84:85], v[48:49], v[41:42]
	v_add_co_ci_u32_e64 v41, null, 0, 0, s2
	s_waitcnt vmcnt(8)
	v_mul_f64 v[86:87], v[54:55], v[45:46]
	v_mul_f64 v[88:89], v[52:53], v[45:46]
	s_waitcnt vmcnt(7)
	v_mul_f64 v[90:91], v[58:59], v[132:133]
	v_mul_f64 v[92:93], v[56:57], v[132:133]
	s_waitcnt vmcnt(6)
	v_mul_f64 v[94:95], v[62:63], v[136:137]
	v_mul_f64 v[96:97], v[60:61], v[136:137]
	s_waitcnt vmcnt(5)
	v_mul_f64 v[98:99], v[66:67], v[124:125]
	v_mul_f64 v[100:101], v[64:65], v[124:125]
	s_waitcnt vmcnt(4)
	v_mul_f64 v[102:103], v[70:71], v[128:129]
	s_waitcnt vmcnt(2)
	v_mul_f64 v[106:107], v[74:75], v[140:141]
	v_mul_f64 v[108:109], v[72:73], v[140:141]
	;; [unrolled: 1-line block ×3, first 2 shown]
	s_waitcnt vmcnt(0)
	v_mul_f64 v[110:111], v[78:79], v[144:145]
	v_mul_f64 v[112:113], v[76:77], v[144:145]
	v_fma_f64 v[1:2], v[1:2], v[31:32], v[17:18]
	v_fma_f64 v[3:4], v[3:4], v[31:32], -v[19:20]
	v_fma_f64 v[5:6], v[5:6], v[118:119], v[21:22]
	v_fma_f64 v[7:8], v[7:8], v[118:119], -v[23:24]
	;; [unrolled: 2-line block ×4, first 2 shown]
	s_clause 0x1
	scratch_store_b128 off, v[138:141], off offset:184
	scratch_store_b128 off, v[142:145], off offset:200
	v_fma_f64 v[48:49], v[48:49], v[39:40], v[82:83]
	v_fma_f64 v[50:51], v[50:51], v[39:40], -v[84:85]
	v_and_b32_e32 v30, 1, v214
	v_lshlrev_b32_e32 v23, 5, v241
	v_lshlrev_b32_e32 v21, 5, v178
	v_fma_f64 v[52:53], v[52:53], v[43:44], v[86:87]
	v_fma_f64 v[54:55], v[54:55], v[43:44], -v[88:89]
	v_lshlrev_b32_e32 v18, 4, v30
	v_lshlrev_b32_e32 v40, 1, v241
	v_fma_f64 v[56:57], v[56:57], v[130:131], v[90:91]
	v_fma_f64 v[58:59], v[58:59], v[130:131], -v[92:93]
	v_fma_f64 v[60:61], v[60:61], v[134:135], v[94:95]
	v_fma_f64 v[62:63], v[62:63], v[134:135], -v[96:97]
	;; [unrolled: 2-line block ×3, first 2 shown]
	v_fma_f64 v[68:69], v[68:69], v[126:127], v[102:103]
	v_fma_f64 v[72:73], v[72:73], v[138:139], v[106:107]
	v_fma_f64 v[74:75], v[74:75], v[138:139], -v[108:109]
	v_fma_f64 v[70:71], v[70:71], v[126:127], -v[104:105]
	v_fma_f64 v[76:77], v[76:77], v[142:143], v[110:111]
	v_fma_f64 v[78:79], v[78:79], v[142:143], -v[112:113]
	ds_store_b128 v255, v[1:4]
	ds_store_b128 v255, v[9:12] offset:1872
	ds_store_b128 v255, v[5:8] offset:11232
	;; [unrolled: 1-line block ×11, first 2 shown]
	s_waitcnt lgkmcnt(0)
	s_waitcnt_vscnt null, 0x0
	s_barrier
	buffer_gl0_inv
	ds_load_b128 v[1:4], v255 offset:11232
	ds_load_b128 v[5:8], v255
	ds_load_b128 v[9:12], v255 offset:1872
	ds_load_b128 v[13:16], v255 offset:13104
	;; [unrolled: 1-line block ×10, first 2 shown]
	s_waitcnt lgkmcnt(0)
	s_barrier
	buffer_gl0_inv
	v_add_f64 v[80:81], v[5:6], -v[1:2]
	v_add_f64 v[82:83], v[7:8], -v[3:4]
	;; [unrolled: 1-line block ×12, first 2 shown]
	v_add_co_u32 v15, s2, 0xea, v214
	s_delay_alu instid0(VALU_DEP_1) | instskip(SKIP_2) | instid1(VALU_DEP_4)
	v_add_co_ci_u32_e64 v1, null, 0, 0, s2
	v_lshlrev_b32_e32 v1, 1, v214
	v_add_nc_u32_e32 v2, 0x249, v214
	v_lshlrev_b32_e32 v22, 5, v15
	s_mov_b32 s2, 0xe8584caa
	s_mov_b32 s3, 0x3febb67a
	v_add_nc_u32_e32 v31, 0x3a8, v1
	v_and_b32_e32 v32, 1, v2
	v_lshlrev_b32_e32 v20, 5, v2
	v_lshlrev_b32_e32 v39, 4, v1
	v_and_or_b32 v1, 0xfc, v1, v30
	v_lshlrev_b32_e32 v24, 4, v31
	v_lshlrev_b32_e32 v19, 4, v32
	;; [unrolled: 1-line block ×3, first 2 shown]
	s_mov_b32 s12, s2
	s_delay_alu instid0(VALU_DEP_1)
	v_and_or_b32 v2, 0x5fc, v2, v32
	v_fma_f64 v[3:4], v[5:6], 2.0, -v[80:81]
	v_fma_f64 v[5:6], v[7:8], 2.0, -v[82:83]
	;; [unrolled: 1-line block ×12, first 2 shown]
	ds_store_b128 v212, v[3:6]
	ds_store_b128 v212, v[80:83] offset:16
	ds_store_b128 v23, v[7:10]
	v_lshlrev_b32_e32 v3, 4, v33
	scratch_store_b32 off, v23, off offset:280 ; 4-byte Folded Spill
	ds_store_b128 v23, v[84:87] offset:16
	ds_store_b128 v22, v[11:14]
	scratch_store_b32 off, v22, off offset:276 ; 4-byte Folded Spill
	ds_store_b128 v22, v[48:51] offset:16
	ds_store_b128 v21, v[52:55]
	scratch_store_b32 off, v21, off offset:272 ; 4-byte Folded Spill
	ds_store_b128 v21, v[60:63] offset:16
	ds_store_b128 v39, v[56:59] offset:14976
	scratch_store_b32 off, v24, off offset:284 ; 4-byte Folded Spill
	ds_store_b128 v24, v[64:67] offset:16
	ds_store_b128 v212, v[68:71] offset:18720
	scratch_store_b32 off, v20, off offset:268 ; 4-byte Folded Spill
	ds_store_b128 v20, v[76:79] offset:16
	s_waitcnt lgkmcnt(0)
	s_waitcnt_vscnt null, 0x0
	s_barrier
	buffer_gl0_inv
	s_clause 0x3
	global_load_b128 v[56:59], v18, s[10:11]
	global_load_b128 v[52:55], v19, s[10:11]
	global_load_b128 v[60:63], v3, s[10:11]
	global_load_b64 v[37:38], v19, s[10:11] offset:8
	v_lshlrev_b32_e32 v3, 4, v34
	global_load_b64 v[35:36], v3, s[10:11]
	ds_load_b128 v[3:6], v255 offset:11232
	ds_load_b128 v[7:10], v255 offset:13104
	;; [unrolled: 1-line block ×6, first 2 shown]
	s_waitcnt vmcnt(3) lgkmcnt(4)
	v_mul_f64 v[22:23], v[9:10], v[54:55]
	v_mul_f64 v[18:19], v[5:6], v[58:59]
	;; [unrolled: 1-line block ×4, first 2 shown]
	s_waitcnt lgkmcnt(3)
	v_mul_f64 v[26:27], v[13:14], v[58:59]
	v_mul_f64 v[28:29], v[11:12], v[58:59]
	s_waitcnt vmcnt(2) lgkmcnt(2)
	v_mul_f64 v[72:73], v[50:51], v[62:63]
	v_mul_f64 v[74:75], v[48:49], v[62:63]
	s_waitcnt lgkmcnt(1)
	v_mul_f64 v[76:77], v[66:67], v[58:59]
	v_mul_f64 v[78:79], v[64:65], v[58:59]
	s_waitcnt vmcnt(1) lgkmcnt(0)
	v_mul_f64 v[80:81], v[70:71], v[37:38]
	v_mul_f64 v[82:83], v[68:69], v[37:38]
	scratch_store_b64 off, v[37:38], off offset:240 ; 8-byte Folded Spill
	s_waitcnt vmcnt(0)
	scratch_store_b64 off, v[35:36], off offset:224 ; 8-byte Folded Spill
	v_and_b32_e32 v37, 3, v15
	v_fma_f64 v[22:23], v[7:8], v[35:36], -v[22:23]
	v_fma_f64 v[18:19], v[3:4], v[56:57], -v[18:19]
	v_fma_f64 v[20:21], v[5:6], v[56:57], v[20:21]
	v_fma_f64 v[24:25], v[9:10], v[35:36], v[24:25]
	v_fma_f64 v[26:27], v[11:12], v[56:57], -v[26:27]
	v_fma_f64 v[28:29], v[13:14], v[56:57], v[28:29]
	v_fma_f64 v[84:85], v[48:49], v[60:61], -v[72:73]
	;; [unrolled: 2-line block ×4, first 2 shown]
	v_fma_f64 v[94:95], v[70:71], v[52:53], v[82:83]
	ds_load_b128 v[3:6], v255
	ds_load_b128 v[7:10], v255 offset:1872
	ds_load_b128 v[11:14], v255 offset:3744
	;; [unrolled: 1-line block ×5, first 2 shown]
	v_and_b32_e32 v35, 3, v214
	v_and_b32_e32 v36, 3, v241
	s_waitcnt lgkmcnt(0)
	s_waitcnt_vscnt null, 0x0
	s_barrier
	buffer_gl0_inv
	v_add_f64 v[76:77], v[7:8], -v[22:23]
	v_add_f64 v[72:73], v[3:4], -v[18:19]
	;; [unrolled: 1-line block ×12, first 2 shown]
	v_lshlrev_b32_e32 v18, 1, v15
	v_lshlrev_b32_e32 v19, 1, v178
	;; [unrolled: 1-line block ×3, first 2 shown]
	v_and_or_b32 v1, 0x1fc, v40, v34
	v_and_or_b32 v21, 0x7fc, v31, v30
	;; [unrolled: 1-line block ×4, first 2 shown]
	v_and_b32_e32 v30, 3, v178
	v_lshlrev_b32_e32 v24, 4, v1
	v_lshlrev_b32_e32 v1, 4, v2
	;; [unrolled: 1-line block ×7, first 2 shown]
	scratch_store_b32 off, v25, off offset:308 ; 4-byte Folded Spill
	v_lshlrev_b32_e32 v2, 5, v30
	v_fma_f64 v[7:8], v[7:8], 2.0, -v[76:77]
	v_fma_f64 v[3:4], v[3:4], 2.0, -v[72:73]
	;; [unrolled: 1-line block ×12, first 2 shown]
	ds_store_b128 v25, v[3:6]
	ds_store_b128 v25, v[72:75] offset:32
	ds_store_b128 v24, v[7:10]
	scratch_store_b32 off, v24, off offset:304 ; 4-byte Folded Spill
	ds_store_b128 v24, v[76:79] offset:32
	ds_store_b128 v23, v[11:14]
	scratch_store_b32 off, v23, off offset:300 ; 4-byte Folded Spill
	;; [unrolled: 3-line block ×5, first 2 shown]
	ds_store_b128 v1, v[92:95] offset:32
	v_lshlrev_b32_e32 v1, 5, v37
	s_waitcnt lgkmcnt(0)
	s_waitcnt_vscnt null, 0x0
	s_barrier
	buffer_gl0_inv
	s_clause 0x7
	global_load_b128 v[80:83], v20, s[10:11] offset:32
	global_load_b128 v[64:67], v20, s[10:11] offset:48
	;; [unrolled: 1-line block ×8, first 2 shown]
	ds_load_b128 v[1:4], v255 offset:7488
	ds_load_b128 v[5:8], v255 offset:14976
	ds_load_b128 v[9:12], v255 offset:9360
	ds_load_b128 v[48:51], v255 offset:16848
	ds_load_b128 v[96:99], v255 offset:11232
	ds_load_b128 v[100:103], v255 offset:18720
	ds_load_b128 v[104:107], v255 offset:13104
	ds_load_b128 v[108:111], v255 offset:20592
	s_waitcnt vmcnt(7) lgkmcnt(7)
	v_mul_f64 v[13:14], v[3:4], v[82:83]
	v_mul_f64 v[18:19], v[1:2], v[82:83]
	s_waitcnt vmcnt(6) lgkmcnt(6)
	v_mul_f64 v[20:21], v[7:8], v[66:67]
	v_mul_f64 v[22:23], v[5:6], v[66:67]
	;; [unrolled: 3-line block ×8, first 2 shown]
	v_fma_f64 v[13:14], v[1:2], v[80:81], -v[13:14]
	v_fma_f64 v[18:19], v[3:4], v[80:81], v[18:19]
	v_fma_f64 v[20:21], v[5:6], v[64:65], -v[20:21]
	v_fma_f64 v[22:23], v[7:8], v[64:65], v[22:23]
	;; [unrolled: 2-line block ×8, first 2 shown]
	ds_load_b128 v[1:4], v255
	ds_load_b128 v[5:8], v255 offset:1872
	ds_load_b128 v[9:12], v255 offset:3744
	ds_load_b128 v[48:51], v255 offset:5616
	s_waitcnt lgkmcnt(0)
	s_barrier
	buffer_gl0_inv
	v_add_f64 v[128:129], v[1:2], v[13:14]
	v_add_f64 v[112:113], v[13:14], v[20:21]
	;; [unrolled: 1-line block ×3, first 2 shown]
	v_add_f64 v[136:137], v[18:19], -v[22:23]
	v_add_f64 v[18:19], v[3:4], v[18:19]
	v_add_f64 v[116:117], v[24:25], v[28:29]
	;; [unrolled: 1-line block ×13, first 2 shown]
	v_add_f64 v[13:14], v[13:14], -v[20:21]
	v_add_f64 v[26:27], v[26:27], -v[130:131]
	;; [unrolled: 1-line block ×5, first 2 shown]
	v_add_f64 v[140:141], v[128:129], v[20:21]
	v_fma_f64 v[1:2], v[112:113], -0.5, v[1:2]
	v_fma_f64 v[3:4], v[114:115], -0.5, v[3:4]
	v_add_f64 v[142:143], v[18:19], v[22:23]
	v_fma_f64 v[5:6], v[116:117], -0.5, v[5:6]
	v_fma_f64 v[7:8], v[118:119], -0.5, v[7:8]
	v_add_f64 v[116:117], v[98:99], -v[102:103]
	v_add_f64 v[118:119], v[96:97], -v[100:101]
	v_fma_f64 v[9:10], v[120:121], -0.5, v[9:10]
	v_fma_f64 v[11:12], v[122:123], -0.5, v[11:12]
	v_add_f64 v[112:113], v[132:133], v[28:29]
	v_add_f64 v[114:115], v[134:135], v[130:131]
	v_fma_f64 v[48:49], v[124:125], -0.5, v[48:49]
	v_fma_f64 v[50:51], v[126:127], -0.5, v[50:51]
	v_add_f64 v[144:145], v[138:139], v[100:101]
	v_add_f64 v[146:147], v[146:147], v[102:103]
	;; [unrolled: 1-line block ×4, first 2 shown]
                                        ; implicit-def: $vgpr120_vgpr121
	v_fma_f64 v[96:97], v[136:137], s[2:3], v[1:2]
	v_fma_f64 v[108:109], v[136:137], s[12:13], v[1:2]
	;; [unrolled: 1-line block ×16, first 2 shown]
	s_load_b64 s[2:3], s[0:1], 0x38
	v_lshrrev_b32_e32 v1, 2, v214
	v_lshrrev_b32_e32 v2, 2, v241
	;; [unrolled: 1-line block ×4, first 2 shown]
	s_delay_alu instid0(VALU_DEP_4) | instskip(NEXT) | instid1(VALU_DEP_4)
	v_mul_u32_u24_e32 v5, 12, v1
	v_mul_u32_u24_e32 v6, 12, v2
	s_delay_alu instid0(VALU_DEP_4) | instskip(NEXT) | instid1(VALU_DEP_4)
	v_mul_u32_u24_e32 v3, 12, v3
	v_mul_u32_u24_e32 v4, 12, v4
	s_delay_alu instid0(VALU_DEP_4) | instskip(NEXT) | instid1(VALU_DEP_4)
	v_or_b32_e32 v1, v5, v35
	v_or_b32_e32 v2, v6, v36
	s_delay_alu instid0(VALU_DEP_4) | instskip(NEXT) | instid1(VALU_DEP_4)
	v_or_b32_e32 v3, v3, v37
	v_or_b32_e32 v4, v4, v30
	s_delay_alu instid0(VALU_DEP_4) | instskip(NEXT) | instid1(VALU_DEP_4)
	v_lshlrev_b32_e32 v5, 4, v1
	v_lshlrev_b32_e32 v1, 4, v2
	s_delay_alu instid0(VALU_DEP_4) | instskip(NEXT) | instid1(VALU_DEP_4)
	v_lshlrev_b32_e32 v0, 4, v3
	v_lshlrev_b32_e32 v213, 4, v4
	ds_store_b128 v5, v[140:143]
	ds_store_b128 v5, v[96:99] offset:64
	scratch_store_b32 off, v5, off offset:264 ; 4-byte Folded Spill
	ds_store_b128 v5, v[108:111] offset:128
	ds_store_b128 v1, v[112:115]
	ds_store_b128 v1, v[124:127] offset:64
	scratch_store_b32 off, v1, off offset:256 ; 4-byte Folded Spill
	ds_store_b128 v1, v[128:131] offset:128
	;; [unrolled: 4-line block ×3, first 2 shown]
	ds_store_b128 v213, v[132:135]
	ds_store_b128 v213, v[136:139] offset:64
	ds_store_b128 v213, v[116:119] offset:128
	s_waitcnt lgkmcnt(0)
	s_waitcnt_vscnt null, 0x0
	s_barrier
	buffer_gl0_inv
	s_and_saveexec_b32 s0, vcc_lo
	s_cbranch_execz .LBB0_3
; %bb.2:
	ds_load_b128 v[140:143], v255
	ds_load_b128 v[96:99], v255 offset:1728
	ds_load_b128 v[108:111], v255 offset:3456
	;; [unrolled: 1-line block ×12, first 2 shown]
.LBB0_3:
	s_or_b32 exec_lo, exec_lo, s0
	v_and_b32_e32 v0, 0xff, v214
	s_mov_b32 s14, 0x4267c47c
	s_mov_b32 s15, 0xbfddbe06
	;; [unrolled: 1-line block ×4, first 2 shown]
	v_mul_lo_u16 v0, 0xab, v0
	s_mov_b32 s13, 0x3fec55a7
	s_mov_b32 s19, 0xbfea55e2
	;; [unrolled: 1-line block ×4, first 2 shown]
	v_lshrrev_b16 v14, 11, v0
	s_mov_b32 s20, 0x66966769
	s_mov_b32 s21, 0xbfefc445
	;; [unrolled: 1-line block ×4, first 2 shown]
	v_mul_lo_u16 v0, v14, 12
	s_mov_b32 s28, 0x2ef20147
	s_mov_b32 s29, 0xbfedeba7
	;; [unrolled: 1-line block ×4, first 2 shown]
	v_sub_nc_u16 v0, v214, v0
	s_mov_b32 s30, 0x24c2f84
	s_mov_b32 s31, 0xbfe5384d
	;; [unrolled: 1-line block ×4, first 2 shown]
	v_and_b32_e32 v2, 0xff, v0
	s_mov_b32 s34, 0x4bc48dbf
	s_mov_b32 s35, 0xbfcea1e5
	;; [unrolled: 1-line block ×4, first 2 shown]
	v_mad_u64_u32 v[0:1], null, 0xc0, v2, s[10:11]
	scratch_store_b32 off, v2, off offset:216 ; 4-byte Folded Spill
	v_and_b32_e32 v14, 0xffff, v14
	s_clause 0x1
	global_load_b128 v[48:51], v[0:1], off offset:160
	global_load_b128 v[100:103], v[0:1], off offset:176
	s_waitcnt vmcnt(1) lgkmcnt(11)
	v_mul_f64 v[2:3], v[98:99], v[50:51]
	v_mul_f64 v[4:5], v[96:97], v[50:51]
	s_delay_alu instid0(VALU_DEP_2) | instskip(NEXT) | instid1(VALU_DEP_2)
	v_fma_f64 v[2:3], v[96:97], v[48:49], -v[2:3]
	v_fma_f64 v[4:5], v[98:99], v[48:49], v[4:5]
	s_clause 0x1
	global_load_b128 v[96:99], v[0:1], off offset:336
	global_load_b128 v[104:107], v[0:1], off offset:320
	s_waitcnt vmcnt(1) lgkmcnt(0)
	v_mul_f64 v[6:7], v[120:121], v[98:99]
	s_delay_alu instid0(VALU_DEP_1) | instskip(SKIP_1) | instid1(VALU_DEP_2)
	v_fma_f64 v[26:27], v[122:123], v[96:97], v[6:7]
	v_mul_f64 v[6:7], v[122:123], v[98:99]
	v_add_f64 v[10:11], v[4:5], -v[26:27]
	s_delay_alu instid0(VALU_DEP_2) | instskip(SKIP_2) | instid1(VALU_DEP_3)
	v_fma_f64 v[28:29], v[120:121], v[96:97], -v[6:7]
	v_mul_f64 v[6:7], v[110:111], v[102:103]
	v_add_f64 v[210:211], v[4:5], v[26:27]
	v_add_f64 v[8:9], v[2:3], v[28:29]
	s_delay_alu instid0(VALU_DEP_3) | instskip(SKIP_1) | instid1(VALU_DEP_1)
	v_fma_f64 v[34:35], v[108:109], v[100:101], -v[6:7]
	v_mul_f64 v[6:7], v[108:109], v[102:103]
	v_fma_f64 v[36:37], v[110:111], v[100:101], v[6:7]
	s_waitcnt vmcnt(0)
	v_mul_f64 v[6:7], v[116:117], v[106:107]
	s_delay_alu instid0(VALU_DEP_1) | instskip(SKIP_1) | instid1(VALU_DEP_2)
	v_fma_f64 v[30:31], v[118:119], v[104:105], v[6:7]
	v_mul_f64 v[6:7], v[118:119], v[106:107]
	v_add_f64 v[219:220], v[36:37], -v[30:31]
	s_delay_alu instid0(VALU_DEP_2)
	v_fma_f64 v[32:33], v[116:117], v[104:105], -v[6:7]
	s_clause 0x1
	global_load_b128 v[108:111], v[0:1], off offset:192
	global_load_b128 v[116:119], v[0:1], off offset:208
	v_add_f64 v[179:180], v[36:37], v[30:31]
	v_mul_f64 v[172:173], v[219:220], s[18:19]
	v_add_f64 v[221:222], v[34:35], -v[32:33]
	s_delay_alu instid0(VALU_DEP_1) | instskip(NEXT) | instid1(VALU_DEP_1)
	v_mul_f64 v[174:175], v[221:222], s[18:19]
	v_fma_f64 v[20:21], v[179:180], s[0:1], -v[174:175]
	s_waitcnt vmcnt(1)
	v_mul_f64 v[6:7], v[114:115], v[110:111]
	s_delay_alu instid0(VALU_DEP_1) | instskip(SKIP_1) | instid1(VALU_DEP_1)
	v_fma_f64 v[42:43], v[112:113], v[108:109], -v[6:7]
	v_mul_f64 v[6:7], v[112:113], v[110:111]
	v_fma_f64 v[44:45], v[114:115], v[108:109], v[6:7]
	s_clause 0x1
	global_load_b128 v[112:115], v[0:1], off offset:304
	global_load_b128 v[120:123], v[0:1], off offset:288
	s_waitcnt vmcnt(1)
	v_mul_f64 v[6:7], v[138:139], v[114:115]
	s_delay_alu instid0(VALU_DEP_1) | instskip(SKIP_1) | instid1(VALU_DEP_2)
	v_fma_f64 v[46:47], v[136:137], v[112:113], -v[6:7]
	v_mul_f64 v[6:7], v[136:137], v[114:115]
	v_add_f64 v[200:201], v[42:43], v[46:47]
	s_delay_alu instid0(VALU_DEP_2) | instskip(SKIP_2) | instid1(VALU_DEP_3)
	v_fma_f64 v[156:157], v[138:139], v[112:113], v[6:7]
	v_mul_f64 v[6:7], v[126:127], v[118:119]
	v_add_f64 v[187:188], v[42:43], -v[46:47]
	v_add_f64 v[245:246], v[44:45], -v[156:157]
	s_delay_alu instid0(VALU_DEP_3) | instskip(SKIP_4) | instid1(VALU_DEP_4)
	v_fma_f64 v[162:163], v[124:125], v[116:117], -v[6:7]
	v_mul_f64 v[6:7], v[124:125], v[118:119]
	v_add_f64 v[183:184], v[44:45], v[156:157]
	v_mul_f64 v[185:186], v[187:188], s[20:21]
	v_mul_f64 v[176:177], v[245:246], s[20:21]
	v_fma_f64 v[164:165], v[126:127], v[116:117], v[6:7]
	s_waitcnt vmcnt(0)
	v_mul_f64 v[6:7], v[134:135], v[122:123]
	s_delay_alu instid0(VALU_DEP_1) | instskip(SKIP_1) | instid1(VALU_DEP_2)
	v_fma_f64 v[158:159], v[132:133], v[120:121], -v[6:7]
	v_mul_f64 v[6:7], v[132:133], v[122:123]
	v_add_f64 v[206:207], v[162:163], v[158:159]
	s_delay_alu instid0(VALU_DEP_2)
	v_fma_f64 v[160:161], v[134:135], v[120:121], v[6:7]
	s_clause 0x1
	global_load_b128 v[124:127], v[0:1], off offset:224
	global_load_b128 v[132:135], v[0:1], off offset:240
	v_add_f64 v[243:244], v[162:163], -v[158:159]
	v_add_f64 v[251:252], v[164:165], -v[160:161]
	v_add_f64 v[215:216], v[164:165], v[160:161]
	s_delay_alu instid0(VALU_DEP_3) | instskip(NEXT) | instid1(VALU_DEP_3)
	v_mul_f64 v[189:190], v[243:244], s[28:29]
	v_mul_f64 v[181:182], v[251:252], s[28:29]
	s_waitcnt vmcnt(1)
	v_mul_f64 v[6:7], v[130:131], v[126:127]
	s_delay_alu instid0(VALU_DEP_1) | instskip(SKIP_1) | instid1(VALU_DEP_1)
	v_fma_f64 v[239:240], v[128:129], v[124:125], -v[6:7]
	v_mul_f64 v[6:7], v[128:129], v[126:127]
	v_fma_f64 v[227:228], v[130:131], v[124:125], v[6:7]
	s_clause 0x1
	global_load_b128 v[128:131], v[0:1], off offset:272
	global_load_b128 v[136:139], v[0:1], off offset:256
	v_mul_f64 v[6:7], v[10:11], s[14:15]
	scratch_store_b32 off, v14, off offset:220 ; 4-byte Folded Spill
	s_waitcnt vmcnt(1)
	v_mul_f64 v[0:1], v[154:155], v[130:131]
	s_delay_alu instid0(VALU_DEP_1) | instskip(SKIP_1) | instid1(VALU_DEP_2)
	v_fma_f64 v[170:171], v[152:153], v[128:129], -v[0:1]
	v_mul_f64 v[0:1], v[152:153], v[130:131]
	v_add_f64 v[223:224], v[239:240], v[170:171]
	s_delay_alu instid0(VALU_DEP_2) | instskip(SKIP_2) | instid1(VALU_DEP_3)
	v_fma_f64 v[152:153], v[154:155], v[128:129], v[0:1]
	v_mul_f64 v[0:1], v[146:147], v[134:135]
	v_add_f64 v[247:248], v[239:240], -v[170:171]
	v_add_f64 v[253:254], v[227:228], -v[152:153]
	s_delay_alu instid0(VALU_DEP_3) | instskip(SKIP_4) | instid1(VALU_DEP_4)
	v_fma_f64 v[154:155], v[144:145], v[132:133], -v[0:1]
	v_mul_f64 v[0:1], v[144:145], v[134:135]
	v_add_f64 v[235:236], v[227:228], v[152:153]
	v_mul_f64 v[193:194], v[247:248], s[30:31]
	v_mul_f64 v[16:17], v[253:254], s[30:31]
	v_fma_f64 v[146:147], v[146:147], v[132:133], v[0:1]
	s_waitcnt vmcnt(0)
	v_mul_f64 v[0:1], v[150:151], v[138:139]
	s_delay_alu instid0(VALU_DEP_1) | instskip(SKIP_1) | instid1(VALU_DEP_2)
	v_fma_f64 v[144:145], v[148:149], v[136:137], -v[0:1]
	v_mul_f64 v[0:1], v[148:149], v[138:139]
	v_add_f64 v[231:232], v[154:155], v[144:145]
	s_delay_alu instid0(VALU_DEP_2) | instskip(SKIP_3) | instid1(VALU_DEP_4)
	v_fma_f64 v[148:149], v[150:151], v[136:137], v[0:1]
	v_fma_f64 v[0:1], v[8:9], s[12:13], v[6:7]
	v_add_f64 v[150:151], v[34:35], v[32:33]
	v_add_f64 v[249:250], v[154:155], -v[144:145]
	v_add_f64 v[204:205], v[146:147], v[148:149]
	s_delay_alu instid0(VALU_DEP_4) | instskip(NEXT) | instid1(VALU_DEP_4)
	v_add_f64 v[0:1], v[140:141], v[0:1]
	v_fma_f64 v[12:13], v[150:151], s[0:1], v[172:173]
	s_delay_alu instid0(VALU_DEP_4) | instskip(NEXT) | instid1(VALU_DEP_2)
	v_mul_f64 v[198:199], v[249:250], s[34:35]
	v_add_f64 v[0:1], v[12:13], v[0:1]
	v_add_f64 v[12:13], v[2:3], -v[28:29]
	s_delay_alu instid0(VALU_DEP_1) | instskip(NEXT) | instid1(VALU_DEP_1)
	v_mul_f64 v[208:209], v[12:13], s[14:15]
	v_fma_f64 v[18:19], v[210:211], s[12:13], -v[208:209]
	s_delay_alu instid0(VALU_DEP_1) | instskip(NEXT) | instid1(VALU_DEP_1)
	v_add_f64 v[18:19], v[142:143], v[18:19]
	v_add_f64 v[18:19], v[20:21], v[18:19]
	v_fma_f64 v[20:21], v[200:201], s[16:17], v[176:177]
	s_delay_alu instid0(VALU_DEP_1) | instskip(SKIP_1) | instid1(VALU_DEP_1)
	v_add_f64 v[0:1], v[20:21], v[0:1]
	v_fma_f64 v[20:21], v[183:184], s[16:17], -v[185:186]
	v_add_f64 v[18:19], v[20:21], v[18:19]
	v_fma_f64 v[20:21], v[206:207], s[22:23], v[181:182]
	s_delay_alu instid0(VALU_DEP_1) | instskip(SKIP_1) | instid1(VALU_DEP_1)
	v_add_f64 v[0:1], v[20:21], v[0:1]
	v_fma_f64 v[20:21], v[215:216], s[22:23], -v[189:190]
	v_add_f64 v[18:19], v[20:21], v[18:19]
	v_fma_f64 v[20:21], v[223:224], s[24:25], v[16:17]
	s_delay_alu instid0(VALU_DEP_1) | instskip(SKIP_1) | instid1(VALU_DEP_1)
	v_add_f64 v[20:21], v[20:21], v[0:1]
	v_fma_f64 v[0:1], v[235:236], s[24:25], -v[193:194]
	v_add_f64 v[18:19], v[0:1], v[18:19]
	v_add_f64 v[0:1], v[146:147], -v[148:149]
	s_delay_alu instid0(VALU_DEP_1) | instskip(NEXT) | instid1(VALU_DEP_1)
	v_mul_f64 v[191:192], v[0:1], s[34:35]
	v_fma_f64 v[22:23], v[231:232], s[26:27], v[191:192]
	s_delay_alu instid0(VALU_DEP_1) | instskip(SKIP_1) | instid1(VALU_DEP_1)
	v_add_f64 v[22:23], v[22:23], v[20:21]
	v_fma_f64 v[20:21], v[204:205], s[26:27], -v[198:199]
	v_add_f64 v[24:25], v[20:21], v[18:19]
	scratch_store_b128 off, v[22:25], off   ; 16-byte Folded Spill
	s_waitcnt_vscnt null, 0x0
	s_barrier
	buffer_gl0_inv
	s_and_saveexec_b32 s33, vcc_lo
	s_cbranch_execz .LBB0_5
; %bb.4:
	v_mul_f64 v[18:19], v[210:211], s[26:27]
	v_mul_f64 v[22:23], v[210:211], s[24:25]
	s_clause 0x3
	scratch_store_b64 off, v[30:31], off offset:336
	scratch_store_b64 off, v[32:33], off offset:344
	;; [unrolled: 1-line block ×4, first 2 shown]
	v_mul_f64 v[30:31], v[210:211], s[16:17]
	v_mul_f64 v[34:35], v[210:211], s[0:1]
	s_clause 0x3
	scratch_store_b32 off, v39, off offset:312
	scratch_store_b32 off, v212, off offset:316
	scratch_store_b64 off, v[26:27], off offset:320
	scratch_store_b64 off, v[28:29], off offset:328
	v_mul_f64 v[26:27], v[210:211], s[22:23]
	s_mov_b32 s37, 0x3fedeba7
	s_mov_b32 s36, s28
	;; [unrolled: 1-line block ×10, first 2 shown]
	v_mul_f64 v[38:39], v[10:11], s[34:35]
	v_mov_b32_e32 v14, v41
	v_mul_f64 v[40:41], v[10:11], s[20:21]
	s_clause 0x1
	scratch_store_b64 off, v[42:43], off offset:376
	scratch_store_b64 off, v[46:47], off offset:368
	v_add_f64 v[4:5], v[142:143], v[4:5]
	scratch_store_b64 off, v[44:45], off offset:384 ; 8-byte Folded Spill
	v_add_f64 v[2:3], v[140:141], v[2:3]
	s_mov_b32 s47, 0x3fddbe06
	s_mov_b32 s46, s14
	v_mul_f64 v[217:218], v[204:205], s[16:17]
	v_mul_f64 v[225:226], v[0:1], s[44:45]
	;; [unrolled: 1-line block ×5, first 2 shown]
	v_fma_f64 v[20:21], v[12:13], s[38:39], v[18:19]
	v_fma_f64 v[18:19], v[12:13], s[34:35], v[18:19]
	v_fma_f64 v[24:25], v[12:13], s[40:41], v[22:23]
	v_fma_f64 v[22:23], v[12:13], s[30:31], v[22:23]
	v_mul_f64 v[196:197], v[179:180], s[26:27]
	v_mul_f64 v[166:167], v[204:205], s[24:25]
	v_fma_f64 v[32:33], v[12:13], s[44:45], v[30:31]
	v_fma_f64 v[30:31], v[12:13], s[20:21], v[30:31]
	;; [unrolled: 1-line block ×3, first 2 shown]
	v_mul_f64 v[168:169], v[0:1], s[30:31]
	s_clause 0x3
	scratch_store_b64 off, v[198:199], off offset:408
	scratch_store_b64 off, v[156:157], off offset:488
	;; [unrolled: 1-line block ×4, first 2 shown]
	v_fma_f64 v[28:29], v[12:13], s[36:37], v[26:27]
	v_fma_f64 v[26:27], v[12:13], s[28:29], v[26:27]
	;; [unrolled: 1-line block ×3, first 2 shown]
	v_mul_f64 v[34:35], v[210:211], s[12:13]
	v_mul_f64 v[210:211], v[10:11], s[28:29]
	;; [unrolled: 1-line block ×5, first 2 shown]
	scratch_store_b64 off, v[158:159], off offset:496 ; 8-byte Folded Spill
	v_fma_f64 v[42:43], v[8:9], s[26:27], v[38:39]
	v_fma_f64 v[38:39], v[8:9], s[26:27], -v[38:39]
	v_mul_f64 v[158:159], v[215:216], s[12:13]
	s_clause 0x1
	scratch_store_b64 off, v[4:5], off offset:392
	scratch_store_b64 off, v[2:3], off offset:400
	v_add_f64 v[2:3], v[142:143], v[20:21]
	v_add_f64 v[20:21], v[142:143], v[24:25]
	v_add_f64 v[22:23], v[142:143], v[22:23]
	v_add_f64 v[32:33], v[142:143], v[32:33]
	v_add_f64 v[30:31], v[142:143], v[30:31]
	v_add_f64 v[36:37], v[142:143], v[36:37]
	scratch_store_b64 off, v[193:194], off offset:416 ; 8-byte Folded Spill
	v_fma_f64 v[194:195], v[8:9], s[16:17], v[40:41]
	v_fma_f64 v[40:41], v[8:9], s[16:17], -v[40:41]
	v_dual_mov_b32 v193, v214 :: v_dual_mov_b32 v214, v213
	v_add_f64 v[28:29], v[142:143], v[28:29]
	v_add_f64 v[26:27], v[142:143], v[26:27]
	;; [unrolled: 1-line block ×3, first 2 shown]
	v_mul_f64 v[208:209], v[10:11], s[30:31]
	v_mul_f64 v[10:11], v[10:11], s[18:19]
	v_add_f64 v[4:5], v[140:141], v[42:43]
	scratch_store_b64 off, v[36:37], off offset:448 ; 8-byte Folded Spill
	v_add_f64 v[40:41], v[140:141], v[40:41]
	v_fma_f64 v[44:45], v[8:9], s[24:25], v[208:209]
	v_fma_f64 v[46:47], v[8:9], s[24:25], -v[208:209]
	v_fma_f64 v[208:209], v[8:9], s[22:23], v[210:211]
	v_fma_f64 v[210:211], v[8:9], s[22:23], -v[210:211]
	;; [unrolled: 2-line block ×3, first 2 shown]
	v_mul_f64 v[8:9], v[8:9], s[12:13]
	v_add_f64 v[24:25], v[140:141], v[44:45]
	v_add_f64 v[42:43], v[140:141], v[208:209]
	;; [unrolled: 1-line block ×5, first 2 shown]
	v_add_f64 v[6:7], v[8:9], -v[6:7]
	v_add_f64 v[10:11], v[142:143], v[34:35]
	v_add_f64 v[198:199], v[142:143], v[12:13]
	;; [unrolled: 1-line block ×5, first 2 shown]
	v_dual_mov_b32 v46, v174 :: v_dual_mov_b32 v47, v175
	scratch_store_b64 off, v[42:43], off offset:464 ; 8-byte Folded Spill
	v_add_f64 v[42:43], v[140:141], v[194:195]
	v_add_f64 v[6:7], v[140:141], v[6:7]
	s_clause 0x2
	scratch_store_b64 off, v[10:11], off offset:424
	scratch_store_b64 off, v[36:37], off offset:440
	;; [unrolled: 1-line block ×3, first 2 shown]
	v_dual_mov_b32 v42, v172 :: v_dual_mov_b32 v43, v173
	scratch_store_b64 off, v[6:7], off offset:432 ; 8-byte Folded Spill
	v_mul_f64 v[6:7], v[179:180], s[12:13]
	v_mul_f64 v[172:173], v[253:254], s[38:39]
	s_delay_alu instid0(VALU_DEP_2) | instskip(SKIP_1) | instid1(VALU_DEP_3)
	v_fma_f64 v[10:11], v[221:222], s[14:15], v[6:7]
	v_fma_f64 v[6:7], v[221:222], s[46:47], v[6:7]
	v_fma_f64 v[174:175], v[223:224], s[26:27], -v[172:173]
	s_delay_alu instid0(VALU_DEP_3) | instskip(SKIP_1) | instid1(VALU_DEP_4)
	v_add_f64 v[2:3], v[10:11], v[2:3]
	v_mul_f64 v[10:11], v[219:220], s[46:47]
	v_add_f64 v[6:7], v[6:7], v[8:9]
	s_delay_alu instid0(VALU_DEP_2) | instskip(SKIP_1) | instid1(VALU_DEP_2)
	v_fma_f64 v[12:13], v[150:151], s[12:13], v[10:11]
	v_fma_f64 v[8:9], v[150:151], s[12:13], -v[10:11]
	v_add_f64 v[4:5], v[12:13], v[4:5]
	v_mul_f64 v[12:13], v[183:184], s[24:25]
	s_delay_alu instid0(VALU_DEP_3) | instskip(SKIP_1) | instid1(VALU_DEP_3)
	v_add_f64 v[8:9], v[8:9], v[18:19]
	v_mul_f64 v[18:19], v[179:180], s[16:17]
	v_fma_f64 v[140:141], v[187:188], s[40:41], v[12:13]
	v_fma_f64 v[10:11], v[187:188], s[30:31], v[12:13]
	v_fma_f64 v[12:13], v[231:232], s[16:17], -v[225:226]
	s_delay_alu instid0(VALU_DEP_3) | instskip(SKIP_1) | instid1(VALU_DEP_4)
	v_add_f64 v[2:3], v[140:141], v[2:3]
	v_mul_f64 v[140:141], v[245:246], s[30:31]
	v_add_f64 v[6:7], v[10:11], v[6:7]
	s_delay_alu instid0(VALU_DEP_2) | instskip(SKIP_1) | instid1(VALU_DEP_2)
	v_fma_f64 v[142:143], v[200:201], s[24:25], v[140:141]
	v_fma_f64 v[10:11], v[200:201], s[24:25], -v[140:141]
	v_add_f64 v[4:5], v[142:143], v[4:5]
	v_mul_f64 v[142:143], v[215:216], s[0:1]
	s_delay_alu instid0(VALU_DEP_3) | instskip(NEXT) | instid1(VALU_DEP_2)
	v_add_f64 v[8:9], v[10:11], v[8:9]
	v_fma_f64 v[210:211], v[243:244], s[18:19], v[142:143]
	v_fma_f64 v[10:11], v[243:244], s[42:43], v[142:143]
	s_delay_alu instid0(VALU_DEP_2) | instskip(SKIP_1) | instid1(VALU_DEP_3)
	v_add_f64 v[2:3], v[210:211], v[2:3]
	v_mul_f64 v[210:211], v[251:252], s[42:43]
	v_add_f64 v[6:7], v[10:11], v[6:7]
	s_delay_alu instid0(VALU_DEP_2) | instskip(SKIP_1) | instid1(VALU_DEP_2)
	v_fma_f64 v[34:35], v[206:207], s[0:1], v[210:211]
	v_fma_f64 v[10:11], v[206:207], s[0:1], -v[210:211]
	v_add_f64 v[4:5], v[34:35], v[4:5]
	v_mul_f64 v[34:35], v[235:236], s[22:23]
	s_delay_alu instid0(VALU_DEP_3) | instskip(NEXT) | instid1(VALU_DEP_2)
	v_add_f64 v[8:9], v[10:11], v[8:9]
	v_fma_f64 v[202:203], v[247:248], s[36:37], v[34:35]
	v_fma_f64 v[10:11], v[247:248], s[28:29], v[34:35]
	s_delay_alu instid0(VALU_DEP_2) | instskip(SKIP_1) | instid1(VALU_DEP_3)
	v_add_f64 v[2:3], v[202:203], v[2:3]
	v_mul_f64 v[202:203], v[253:254], s[28:29]
	v_add_f64 v[6:7], v[10:11], v[6:7]
	s_delay_alu instid0(VALU_DEP_2) | instskip(SKIP_1) | instid1(VALU_DEP_2)
	v_fma_f64 v[10:11], v[223:224], s[22:23], -v[202:203]
	v_fma_f64 v[212:213], v[223:224], s[22:23], v[202:203]
	v_add_f64 v[10:11], v[10:11], v[8:9]
	v_fma_f64 v[8:9], v[249:250], s[44:45], v[217:218]
	s_delay_alu instid0(VALU_DEP_3) | instskip(SKIP_2) | instid1(VALU_DEP_4)
	v_add_f64 v[212:213], v[212:213], v[4:5]
	v_fma_f64 v[4:5], v[249:250], s[20:21], v[217:218]
	v_mul_f64 v[217:218], v[204:205], s[22:23]
	v_add_f64 v[8:9], v[8:9], v[6:7]
	v_add_f64 v[6:7], v[12:13], v[10:11]
	v_fma_f64 v[10:11], v[221:222], s[20:21], v[18:19]
	v_fma_f64 v[18:19], v[221:222], s[44:45], v[18:19]
	v_add_f64 v[4:5], v[4:5], v[2:3]
	v_fma_f64 v[2:3], v[231:232], s[16:17], v[225:226]
	v_mul_f64 v[225:226], v[0:1], s[28:29]
	v_mul_f64 v[0:1], v[0:1], s[42:43]
	v_add_f64 v[10:11], v[10:11], v[20:21]
	v_mul_f64 v[20:21], v[219:220], s[44:45]
	v_add_f64 v[18:19], v[18:19], v[22:23]
	v_add_f64 v[2:3], v[2:3], v[212:213]
	s_delay_alu instid0(VALU_DEP_3)
	v_fma_f64 v[12:13], v[150:151], s[16:17], v[20:21]
	v_fma_f64 v[20:21], v[150:151], s[16:17], -v[20:21]
	scratch_store_b128 off, v[2:5], off offset:472 ; 16-byte Folded Spill
	v_mov_b32_e32 v2, v164
	v_dual_mov_b32 v4, v215 :: v_dual_mov_b32 v3, v165
	v_mul_f64 v[164:165], v[253:254], s[18:19]
	v_mov_b32_e32 v5, v216
	v_add_f64 v[12:13], v[12:13], v[24:25]
	v_mul_f64 v[24:25], v[183:184], s[0:1]
	v_add_f64 v[20:21], v[20:21], v[38:39]
	v_mul_f64 v[38:39], v[219:220], s[28:29]
	s_delay_alu instid0(VALU_DEP_3) | instskip(SKIP_2) | instid1(VALU_DEP_3)
	v_fma_f64 v[34:35], v[187:188], s[42:43], v[24:25]
	v_fma_f64 v[22:23], v[187:188], s[18:19], v[24:25]
	v_fma_f64 v[24:25], v[231:232], s[22:23], -v[225:226]
	v_add_f64 v[10:11], v[34:35], v[10:11]
	v_mul_f64 v[34:35], v[245:246], s[18:19]
	s_delay_alu instid0(VALU_DEP_4) | instskip(NEXT) | instid1(VALU_DEP_2)
	v_add_f64 v[18:19], v[22:23], v[18:19]
	v_fma_f64 v[140:141], v[200:201], s[0:1], v[34:35]
	v_fma_f64 v[22:23], v[200:201], s[0:1], -v[34:35]
	v_mul_f64 v[34:35], v[179:180], s[22:23]
	s_delay_alu instid0(VALU_DEP_3) | instskip(SKIP_1) | instid1(VALU_DEP_4)
	v_add_f64 v[12:13], v[140:141], v[12:13]
	v_mul_f64 v[140:141], v[215:216], s[26:27]
	v_add_f64 v[20:21], v[22:23], v[20:21]
	s_delay_alu instid0(VALU_DEP_2) | instskip(SKIP_1) | instid1(VALU_DEP_2)
	v_fma_f64 v[142:143], v[243:244], s[34:35], v[140:141]
	v_fma_f64 v[22:23], v[243:244], s[38:39], v[140:141]
	v_add_f64 v[10:11], v[142:143], v[10:11]
	v_mul_f64 v[142:143], v[251:252], s[38:39]
	s_delay_alu instid0(VALU_DEP_3) | instskip(NEXT) | instid1(VALU_DEP_2)
	v_add_f64 v[18:19], v[22:23], v[18:19]
	v_fma_f64 v[202:203], v[206:207], s[26:27], v[142:143]
	v_fma_f64 v[22:23], v[206:207], s[26:27], -v[142:143]
	s_delay_alu instid0(VALU_DEP_2) | instskip(SKIP_1) | instid1(VALU_DEP_3)
	v_add_f64 v[12:13], v[202:203], v[12:13]
	v_mul_f64 v[202:203], v[235:236], s[12:13]
	v_add_f64 v[20:21], v[22:23], v[20:21]
	s_delay_alu instid0(VALU_DEP_2) | instskip(SKIP_2) | instid1(VALU_DEP_3)
	v_fma_f64 v[210:211], v[247:248], s[14:15], v[202:203]
	v_fma_f64 v[22:23], v[247:248], s[46:47], v[202:203]
	v_mul_f64 v[202:203], v[245:246], s[34:35]
	v_add_f64 v[10:11], v[210:211], v[10:11]
	v_mul_f64 v[210:211], v[253:254], s[46:47]
	s_delay_alu instid0(VALU_DEP_4) | instskip(NEXT) | instid1(VALU_DEP_2)
	v_add_f64 v[18:19], v[22:23], v[18:19]
	v_fma_f64 v[22:23], v[223:224], s[12:13], -v[210:211]
	v_fma_f64 v[212:213], v[223:224], s[12:13], v[210:211]
	s_delay_alu instid0(VALU_DEP_2) | instskip(SKIP_1) | instid1(VALU_DEP_3)
	v_add_f64 v[20:21], v[22:23], v[20:21]
	v_fma_f64 v[22:23], v[249:250], s[28:29], v[217:218]
	v_add_f64 v[212:213], v[212:213], v[12:13]
	v_fma_f64 v[12:13], v[249:250], s[36:37], v[217:218]
	v_mul_f64 v[217:218], v[251:252], s[40:41]
	v_add_f64 v[140:141], v[24:25], v[20:21]
	v_add_f64 v[142:143], v[22:23], v[18:19]
	v_fma_f64 v[18:19], v[221:222], s[28:29], v[34:35]
	v_add_f64 v[12:13], v[12:13], v[10:11]
	v_fma_f64 v[10:11], v[231:232], s[22:23], v[225:226]
	v_fma_f64 v[20:21], v[150:151], s[22:23], -v[38:39]
	v_mul_f64 v[225:226], v[235:236], s[16:17]
	v_add_f64 v[18:19], v[18:19], v[198:199]
	v_mul_f64 v[198:199], v[183:184], s[26:27]
	v_add_f64 v[10:11], v[10:11], v[212:213]
	v_add_f64 v[20:21], v[20:21], v[208:209]
	v_mul_f64 v[212:213], v[215:216], s[24:25]
	v_dual_mov_b32 v216, v171 :: v_dual_mov_b32 v215, v170
	v_mul_f64 v[170:171], v[235:236], s[26:27]
	v_fma_f64 v[22:23], v[187:188], s[34:35], v[198:199]
	s_delay_alu instid0(VALU_DEP_1) | instskip(SKIP_1) | instid1(VALU_DEP_1)
	v_add_f64 v[18:19], v[22:23], v[18:19]
	v_fma_f64 v[22:23], v[200:201], s[26:27], -v[202:203]
	v_add_f64 v[20:21], v[22:23], v[20:21]
	v_fma_f64 v[22:23], v[243:244], s[40:41], v[212:213]
	s_delay_alu instid0(VALU_DEP_1) | instskip(SKIP_1) | instid1(VALU_DEP_1)
	v_add_f64 v[18:19], v[22:23], v[18:19]
	v_fma_f64 v[22:23], v[206:207], s[24:25], -v[217:218]
	v_add_f64 v[20:21], v[22:23], v[20:21]
	;; [unrolled: 5-line block ×4, first 2 shown]
	v_fma_f64 v[18:19], v[221:222], s[34:35], v[196:197]
	s_delay_alu instid0(VALU_DEP_1) | instskip(SKIP_1) | instid1(VALU_DEP_1)
	v_add_f64 v[18:19], v[18:19], v[30:31]
	v_mul_f64 v[30:31], v[219:220], s[34:35]
	v_fma_f64 v[20:21], v[150:151], s[26:27], -v[30:31]
	s_delay_alu instid0(VALU_DEP_1) | instskip(SKIP_1) | instid1(VALU_DEP_1)
	v_add_f64 v[20:21], v[20:21], v[40:41]
	v_mul_f64 v[40:41], v[183:184], s[22:23]
	v_fma_f64 v[22:23], v[187:188], s[36:37], v[40:41]
	s_delay_alu instid0(VALU_DEP_1) | instskip(SKIP_1) | instid1(VALU_DEP_1)
	v_add_f64 v[18:19], v[22:23], v[18:19]
	v_fma_f64 v[22:23], v[200:201], s[22:23], -v[156:157]
	v_add_f64 v[20:21], v[22:23], v[20:21]
	v_fma_f64 v[22:23], v[243:244], s[46:47], v[158:159]
	s_delay_alu instid0(VALU_DEP_1) | instskip(SKIP_1) | instid1(VALU_DEP_1)
	v_add_f64 v[18:19], v[22:23], v[18:19]
	v_fma_f64 v[22:23], v[206:207], s[12:13], -v[160:161]
	v_add_f64 v[20:21], v[22:23], v[20:21]
	;; [unrolled: 5-line block ×4, first 2 shown]
	v_mul_f64 v[22:23], v[179:180], s[24:25]
	s_delay_alu instid0(VALU_DEP_1) | instskip(SKIP_1) | instid1(VALU_DEP_2)
	v_fma_f64 v[24:25], v[221:222], s[40:41], v[22:23]
	v_fma_f64 v[22:23], v[221:222], s[30:31], v[22:23]
	v_add_f64 v[24:25], v[24:25], v[26:27]
	v_mul_f64 v[26:27], v[219:220], s[40:41]
	s_delay_alu instid0(VALU_DEP_3) | instskip(SKIP_2) | instid1(VALU_DEP_1)
	v_add_f64 v[22:23], v[22:23], v[28:29]
	scratch_load_b64 v[28:29], off, off offset:456 ; 8-byte Folded Reload
	v_fma_f64 v[219:220], v[150:151], s[24:25], -v[26:27]
	v_add_f64 v[44:45], v[219:220], v[44:45]
	v_mul_f64 v[219:220], v[183:184], s[12:13]
	s_delay_alu instid0(VALU_DEP_1) | instskip(NEXT) | instid1(VALU_DEP_1)
	v_fma_f64 v[194:195], v[187:188], s[46:47], v[219:220]
	v_add_f64 v[24:25], v[194:195], v[24:25]
	v_mul_f64 v[194:195], v[245:246], s[46:47]
	s_delay_alu instid0(VALU_DEP_1) | instskip(NEXT) | instid1(VALU_DEP_1)
	v_fma_f64 v[245:246], v[200:201], s[12:13], -v[194:195]
	v_add_f64 v[44:45], v[245:246], v[44:45]
	v_mul_f64 v[245:246], v[4:5], s[16:17]
	s_delay_alu instid0(VALU_DEP_1) | instskip(NEXT) | instid1(VALU_DEP_1)
	v_fma_f64 v[36:37], v[243:244], s[20:21], v[245:246]
	v_add_f64 v[24:25], v[36:37], v[24:25]
	v_mul_f64 v[36:37], v[251:252], s[20:21]
	s_delay_alu instid0(VALU_DEP_1) | instskip(NEXT) | instid1(VALU_DEP_1)
	v_fma_f64 v[251:252], v[206:207], s[16:17], -v[36:37]
	v_add_f64 v[44:45], v[251:252], v[44:45]
	v_fma_f64 v[251:252], v[247:248], s[38:39], v[170:171]
	s_delay_alu instid0(VALU_DEP_2) | instskip(SKIP_1) | instid1(VALU_DEP_3)
	v_add_f64 v[44:45], v[174:175], v[44:45]
	v_mul_f64 v[174:175], v[204:205], s[0:1]
	v_add_f64 v[24:25], v[251:252], v[24:25]
	s_delay_alu instid0(VALU_DEP_2) | instskip(NEXT) | instid1(VALU_DEP_1)
	v_fma_f64 v[251:252], v[249:250], s[42:43], v[174:175]
	v_add_f64 v[253:254], v[251:252], v[24:25]
	v_fma_f64 v[24:25], v[231:232], s[0:1], -v[0:1]
	v_fma_f64 v[0:1], v[231:232], s[0:1], v[0:1]
	s_delay_alu instid0(VALU_DEP_2)
	v_add_f64 v[251:252], v[24:25], v[44:45]
	v_fma_f64 v[24:25], v[150:151], s[24:25], v[26:27]
	scratch_load_b64 v[26:27], off, off offset:464 ; 8-byte Folded Reload
	s_waitcnt vmcnt(0)
	v_add_f64 v[24:25], v[24:25], v[26:27]
	v_fma_f64 v[26:27], v[187:188], s[14:15], v[219:220]
	s_delay_alu instid0(VALU_DEP_1) | instskip(SKIP_1) | instid1(VALU_DEP_1)
	v_add_f64 v[22:23], v[26:27], v[22:23]
	v_fma_f64 v[26:27], v[200:201], s[12:13], v[194:195]
	v_add_f64 v[24:25], v[26:27], v[24:25]
	v_fma_f64 v[26:27], v[243:244], s[44:45], v[245:246]
	s_delay_alu instid0(VALU_DEP_1) | instskip(SKIP_4) | instid1(VALU_DEP_1)
	v_add_f64 v[22:23], v[26:27], v[22:23]
	v_fma_f64 v[26:27], v[206:207], s[16:17], v[36:37]
	scratch_load_b64 v[36:37], off, off offset:424 ; 8-byte Folded Reload
	v_add_f64 v[24:25], v[26:27], v[24:25]
	v_fma_f64 v[26:27], v[247:248], s[34:35], v[170:171]
	v_add_f64 v[22:23], v[26:27], v[22:23]
	v_fma_f64 v[26:27], v[223:224], s[26:27], v[172:173]
	s_delay_alu instid0(VALU_DEP_1) | instskip(SKIP_1) | instid1(VALU_DEP_1)
	v_add_f64 v[26:27], v[26:27], v[24:25]
	v_fma_f64 v[24:25], v[249:250], s[18:19], v[174:175]
	v_add_f64 v[24:25], v[24:25], v[22:23]
	s_delay_alu instid0(VALU_DEP_3) | instskip(SKIP_3) | instid1(VALU_DEP_3)
	v_add_f64 v[22:23], v[0:1], v[26:27]
	v_fma_f64 v[0:1], v[221:222], s[38:39], v[196:197]
	v_fma_f64 v[26:27], v[150:151], s[26:27], v[30:31]
	;; [unrolled: 1-line block ×3, first 2 shown]
	v_add_f64 v[0:1], v[0:1], v[32:33]
	scratch_load_b64 v[32:33], off, off offset:448 ; 8-byte Folded Reload
	v_add_f64 v[26:27], v[26:27], v[28:29]
	v_fma_f64 v[28:29], v[187:188], s[28:29], v[40:41]
	v_dual_mov_b32 v41, v14 :: v_dual_lshlrev_b32 v40, 1, v241
	s_delay_alu instid0(VALU_DEP_2) | instskip(SKIP_1) | instid1(VALU_DEP_1)
	v_add_f64 v[0:1], v[28:29], v[0:1]
	v_fma_f64 v[28:29], v[200:201], s[22:23], v[156:157]
	v_add_f64 v[26:27], v[28:29], v[26:27]
	v_fma_f64 v[28:29], v[243:244], s[14:15], v[158:159]
	s_delay_alu instid0(VALU_DEP_1) | instskip(SKIP_1) | instid1(VALU_DEP_1)
	v_add_f64 v[0:1], v[28:29], v[0:1]
	v_fma_f64 v[28:29], v[206:207], s[12:13], v[160:161]
	v_add_f64 v[26:27], v[28:29], v[26:27]
	v_fma_f64 v[28:29], v[247:248], s[42:43], v[162:163]
	s_delay_alu instid0(VALU_DEP_1) | instskip(SKIP_1) | instid1(VALU_DEP_1)
	v_add_f64 v[0:1], v[28:29], v[0:1]
	v_fma_f64 v[28:29], v[223:224], s[0:1], v[164:165]
	v_add_f64 v[26:27], v[28:29], v[26:27]
	v_fma_f64 v[28:29], v[249:250], s[40:41], v[166:167]
	s_delay_alu instid0(VALU_DEP_2) | instskip(NEXT) | instid1(VALU_DEP_2)
	v_add_f64 v[26:27], v[30:31], v[26:27]
	v_add_f64 v[28:29], v[28:29], v[0:1]
	v_fma_f64 v[0:1], v[221:222], s[36:37], v[34:35]
	scratch_load_b64 v[34:35], off, off offset:440 ; 8-byte Folded Reload
	v_fma_f64 v[30:31], v[187:188], s[38:39], v[198:199]
	s_waitcnt vmcnt(1)
	v_add_f64 v[0:1], v[0:1], v[32:33]
	v_fma_f64 v[32:33], v[150:151], s[22:23], v[38:39]
	v_mul_f64 v[38:39], v[206:207], s[22:23]
	s_delay_alu instid0(VALU_DEP_3) | instskip(SKIP_1) | instid1(VALU_DEP_3)
	v_add_f64 v[0:1], v[30:31], v[0:1]
	v_fma_f64 v[30:31], v[200:201], s[26:27], v[202:203]
	v_add_f64 v[38:39], v[38:39], -v[181:182]
	s_waitcnt vmcnt(0)
	v_add_f64 v[32:33], v[32:33], v[34:35]
	v_fma_f64 v[34:35], v[243:244], s[30:31], v[212:213]
	scratch_load_b32 v212, off, off offset:316 ; 4-byte Folded Reload
	v_dual_mov_b32 v213, v214 :: v_dual_mov_b32 v214, v193
	v_add_f64 v[30:31], v[30:31], v[32:33]
	v_fma_f64 v[32:33], v[247:248], s[20:21], v[225:226]
	v_add_f64 v[0:1], v[34:35], v[0:1]
	v_fma_f64 v[34:35], v[206:207], s[24:25], v[217:218]
	s_delay_alu instid0(VALU_DEP_2) | instskip(NEXT) | instid1(VALU_DEP_2)
	v_add_f64 v[0:1], v[32:33], v[0:1]
	v_add_f64 v[30:31], v[34:35], v[30:31]
	v_fma_f64 v[32:33], v[223:224], s[16:17], v[229:230]
	v_fma_f64 v[34:35], v[249:250], s[14:15], v[233:234]
	s_delay_alu instid0(VALU_DEP_2) | instskip(SKIP_1) | instid1(VALU_DEP_3)
	v_add_f64 v[30:31], v[32:33], v[30:31]
	v_fma_f64 v[32:33], v[231:232], s[12:13], v[237:238]
	v_add_f64 v[221:222], v[34:35], v[0:1]
	v_mul_f64 v[0:1], v[183:184], s[16:17]
	v_mul_f64 v[34:35], v[200:201], s[16:17]
	s_delay_alu instid0(VALU_DEP_4) | instskip(SKIP_4) | instid1(VALU_DEP_4)
	v_add_f64 v[219:220], v[32:33], v[30:31]
	v_mul_f64 v[30:31], v[179:180], s[0:1]
	v_mul_f64 v[32:33], v[150:151], s[0:1]
	v_add_f64 v[0:1], v[185:186], v[0:1]
	v_add_f64 v[34:35], v[34:35], -v[176:177]
	v_add_f64 v[30:31], v[46:47], v[30:31]
	s_delay_alu instid0(VALU_DEP_4) | instskip(NEXT) | instid1(VALU_DEP_2)
	v_add_f64 v[32:33], v[32:33], -v[42:43]
	v_add_f64 v[30:31], v[30:31], v[36:37]
	scratch_load_b64 v[36:37], off, off offset:432 ; 8-byte Folded Reload
	v_add_f64 v[0:1], v[0:1], v[30:31]
	s_waitcnt vmcnt(0)
	v_add_f64 v[32:33], v[32:33], v[36:37]
	v_mul_f64 v[36:37], v[4:5], s[22:23]
	scratch_load_b64 v[4:5], off, off offset:416 ; 8-byte Folded Reload
	v_add_f64 v[30:31], v[34:35], v[32:33]
	v_mul_f64 v[32:33], v[235:236], s[24:25]
	v_add_f64 v[36:37], v[189:190], v[36:37]
	v_mul_f64 v[34:35], v[223:224], s[24:25]
	s_delay_alu instid0(VALU_DEP_4) | instskip(SKIP_1) | instid1(VALU_DEP_4)
	v_add_f64 v[30:31], v[38:39], v[30:31]
	v_mul_f64 v[38:39], v[231:232], s[26:27]
	v_add_f64 v[0:1], v[36:37], v[0:1]
	s_delay_alu instid0(VALU_DEP_4) | instskip(SKIP_1) | instid1(VALU_DEP_4)
	v_add_f64 v[34:35], v[34:35], -v[16:17]
	v_mul_f64 v[36:37], v[204:205], s[26:27]
	v_add_f64 v[38:39], v[38:39], -v[191:192]
	s_delay_alu instid0(VALU_DEP_3) | instskip(NEXT) | instid1(VALU_DEP_1)
	v_add_f64 v[30:31], v[34:35], v[30:31]
	v_add_f64 v[194:195], v[38:39], v[30:31]
	s_waitcnt vmcnt(0)
	v_add_f64 v[32:33], v[4:5], v[32:33]
	scratch_load_b64 v[4:5], off, off offset:408 ; 8-byte Folded Reload
	v_add_f64 v[0:1], v[32:33], v[0:1]
	s_waitcnt vmcnt(0)
	v_add_f64 v[36:37], v[4:5], v[36:37]
	s_delay_alu instid0(VALU_DEP_1)
	v_add_f64 v[196:197], v[36:37], v[0:1]
	s_clause 0x2
	scratch_load_b32 v39, off, off offset:312
	scratch_load_b64 v[0:1], off, off offset:360
	scratch_load_b64 v[4:5], off, off offset:392
	s_waitcnt vmcnt(0)
	v_add_f64 v[0:1], v[4:5], v[0:1]
	s_clause 0x1
	scratch_load_b64 v[4:5], off, off offset:352
	scratch_load_b64 v[16:17], off, off offset:400
	s_waitcnt vmcnt(0)
	v_add_f64 v[30:31], v[16:17], v[4:5]
	scratch_load_b64 v[4:5], off, off offset:384 ; 8-byte Folded Reload
	s_waitcnt vmcnt(0)
	v_add_f64 v[0:1], v[0:1], v[4:5]
	scratch_load_b64 v[4:5], off, off offset:376 ; 8-byte Folded Reload
	v_add_f64 v[0:1], v[0:1], v[2:3]
	scratch_load_b64 v[2:3], off, off offset:512 ; 8-byte Folded Reload
	v_add_f64 v[0:1], v[0:1], v[227:228]
	s_delay_alu instid0(VALU_DEP_1) | instskip(NEXT) | instid1(VALU_DEP_1)
	v_add_f64 v[0:1], v[0:1], v[146:147]
	v_add_f64 v[0:1], v[0:1], v[148:149]
	s_delay_alu instid0(VALU_DEP_1) | instskip(SKIP_3) | instid1(VALU_DEP_1)
	v_add_f64 v[0:1], v[0:1], v[152:153]
	s_waitcnt vmcnt(1)
	v_add_f64 v[30:31], v[30:31], v[4:5]
	s_waitcnt vmcnt(0)
	v_add_f64 v[30:31], v[30:31], v[2:3]
	scratch_load_b64 v[2:3], off, off offset:504 ; 8-byte Folded Reload
	v_add_f64 v[30:31], v[30:31], v[239:240]
	s_delay_alu instid0(VALU_DEP_1) | instskip(NEXT) | instid1(VALU_DEP_1)
	v_add_f64 v[30:31], v[30:31], v[154:155]
	v_add_f64 v[30:31], v[30:31], v[144:145]
	s_delay_alu instid0(VALU_DEP_1)
	v_add_f64 v[30:31], v[30:31], v[215:216]
	s_waitcnt vmcnt(0)
	v_add_f64 v[0:1], v[0:1], v[2:3]
	scratch_load_b64 v[2:3], off, off offset:496 ; 8-byte Folded Reload
	s_waitcnt vmcnt(0)
	v_add_f64 v[30:31], v[30:31], v[2:3]
	scratch_load_b64 v[2:3], off, off offset:488 ; 8-byte Folded Reload
	s_waitcnt vmcnt(0)
	v_add_f64 v[0:1], v[0:1], v[2:3]
	scratch_load_b64 v[2:3], off, off offset:368 ; 8-byte Folded Reload
	s_waitcnt vmcnt(0)
	v_add_f64 v[30:31], v[30:31], v[2:3]
	scratch_load_b64 v[2:3], off, off offset:336 ; 8-byte Folded Reload
	s_waitcnt vmcnt(0)
	v_add_f64 v[0:1], v[0:1], v[2:3]
	scratch_load_b64 v[2:3], off, off offset:344 ; 8-byte Folded Reload
	s_waitcnt vmcnt(0)
	v_add_f64 v[30:31], v[30:31], v[2:3]
	scratch_load_b64 v[2:3], off, off offset:320 ; 8-byte Folded Reload
	s_waitcnt vmcnt(0)
	v_add_f64 v[146:147], v[0:1], v[2:3]
	scratch_load_b64 v[0:1], off, off offset:328 ; 8-byte Folded Reload
	s_waitcnt vmcnt(0)
	v_add_f64 v[144:145], v[30:31], v[0:1]
	s_clause 0x1
	scratch_load_b32 v0, off, off offset:220
	scratch_load_b32 v1, off, off offset:216
	s_waitcnt vmcnt(1)
	v_mul_u32_u24_e32 v0, 0x9c, v0
	s_waitcnt vmcnt(0)
	s_delay_alu instid0(VALU_DEP_1)
	v_add_lshl_u32 v0, v0, v1, 4
	ds_store_b128 v0, v[208:211] offset:384
	ds_store_b128 v0, v[18:21] offset:576
	;; [unrolled: 1-line block ×5, first 2 shown]
	scratch_load_b128 v[1:4], off, off offset:472 ; 16-byte Folded Reload
	s_waitcnt vmcnt(0)
	ds_store_b128 v0, v[1:4] offset:1344
	ds_store_b128 v0, v[10:13] offset:1536
	;; [unrolled: 1-line block ×6, first 2 shown]
	ds_store_b128 v0, v[144:147]
	scratch_load_b128 v[1:4], off, off      ; 16-byte Folded Reload
	s_waitcnt vmcnt(0)
	ds_store_b128 v0, v[1:4] offset:2304
.LBB0_5:
	s_or_b32 exec_lo, exec_lo, s33
	s_waitcnt lgkmcnt(0)
	s_waitcnt_vscnt null, 0x0
	s_barrier
	buffer_gl0_inv
	s_clause 0x1
	global_load_b128 v[141:144], v39, s[10:11] offset:2464
	global_load_b128 v[145:148], v39, s[10:11] offset:2480
	ds_load_b128 v[0:3], v255 offset:7488
	ds_load_b128 v[4:7], v255 offset:9360
	s_mov_b32 s14, 0xe8584caa
	s_mov_b32 s15, 0x3febb67a
	;; [unrolled: 1-line block ×4, first 2 shown]
	s_waitcnt vmcnt(1) lgkmcnt(1)
	v_mul_f64 v[8:9], v[2:3], v[143:144]
	s_delay_alu instid0(VALU_DEP_1) | instskip(SKIP_1) | instid1(VALU_DEP_1)
	v_fma_f64 v[13:14], v[0:1], v[141:142], -v[8:9]
	v_mul_f64 v[0:1], v[0:1], v[143:144]
	v_fma_f64 v[180:181], v[2:3], v[141:142], v[0:1]
	ds_load_b128 v[0:3], v255 offset:14976
	ds_load_b128 v[8:11], v255 offset:16848
	s_waitcnt vmcnt(0) lgkmcnt(1)
	v_mul_f64 v[18:19], v[2:3], v[147:148]
	s_delay_alu instid0(VALU_DEP_1) | instskip(SKIP_1) | instid1(VALU_DEP_1)
	v_fma_f64 v[188:189], v[0:1], v[145:146], -v[18:19]
	v_mul_f64 v[0:1], v[0:1], v[147:148]
	v_fma_f64 v[192:193], v[2:3], v[145:146], v[0:1]
	v_add_co_u32 v0, s0, 0xffffffd9, v214
	s_delay_alu instid0(VALU_DEP_1) | instskip(SKIP_1) | instid1(VALU_DEP_1)
	v_add_co_ci_u32_e64 v1, null, 0, -1, s0
	v_cmp_gt_u16_e64 s0, 39, v214
	v_cndmask_b32_e64 v0, v0, v241, s0
	s_delay_alu instid0(VALU_DEP_3) | instskip(NEXT) | instid1(VALU_DEP_1)
	v_cndmask_b32_e64 v1, v1, v41, s0
	v_lshlrev_b64 v[1:2], 5, v[0:1]
	s_delay_alu instid0(VALU_DEP_1) | instskip(NEXT) | instid1(VALU_DEP_1)
	v_add_co_u32 v1, s0, s10, v1
	v_add_co_ci_u32_e64 v2, s0, s11, v2, s0
	s_clause 0x1
	global_load_b128 v[153:156], v[1:2], off offset:2464
	global_load_b128 v[149:152], v[1:2], off offset:2480
	v_add_f64 v[33:34], v[180:181], -v[192:193]
	s_waitcnt vmcnt(1)
	v_mul_f64 v[1:2], v[6:7], v[155:156]
	s_delay_alu instid0(VALU_DEP_1) | instskip(SKIP_1) | instid1(VALU_DEP_1)
	v_fma_f64 v[1:2], v[4:5], v[153:154], -v[1:2]
	v_mul_f64 v[3:4], v[4:5], v[155:156]
	v_fma_f64 v[5:6], v[6:7], v[153:154], v[3:4]
	s_waitcnt vmcnt(0) lgkmcnt(0)
	v_mul_f64 v[3:4], v[10:11], v[151:152]
	s_delay_alu instid0(VALU_DEP_1) | instskip(SKIP_2) | instid1(VALU_DEP_1)
	v_fma_f64 v[3:4], v[8:9], v[149:150], -v[3:4]
	v_mul_f64 v[7:8], v[8:9], v[151:152]
	v_lshrrev_b16 v9, 2, v15
	v_and_b32_e32 v9, 0xffff, v9
	s_delay_alu instid0(VALU_DEP_1) | instskip(NEXT) | instid1(VALU_DEP_1)
	v_mul_u32_u24_e32 v9, 0xd21, v9
	v_lshrrev_b32_e32 v17, 17, v9
	s_delay_alu instid0(VALU_DEP_1) | instskip(NEXT) | instid1(VALU_DEP_1)
	v_mul_lo_u16 v9, 0x9c, v17
	v_sub_nc_u16 v18, v15, v9
	s_delay_alu instid0(VALU_DEP_1) | instskip(NEXT) | instid1(VALU_DEP_1)
	v_lshlrev_b16 v9, 5, v18
	v_and_b32_e32 v9, 0xffff, v9
	v_fma_f64 v[7:8], v[10:11], v[149:150], v[7:8]
	s_delay_alu instid0(VALU_DEP_2) | instskip(NEXT) | instid1(VALU_DEP_1)
	v_add_co_u32 v9, s0, s10, v9
	v_add_co_ci_u32_e64 v10, null, s11, 0, s0
	s_clause 0x1
	global_load_b128 v[157:160], v[9:10], off offset:2464
	global_load_b128 v[161:164], v[9:10], off offset:2480
	ds_load_b128 v[19:22], v255 offset:11232
	ds_load_b128 v[23:26], v255 offset:13104
	s_waitcnt vmcnt(1) lgkmcnt(1)
	v_mul_f64 v[9:10], v[21:22], v[159:160]
	v_mul_f64 v[11:12], v[19:20], v[159:160]
	s_delay_alu instid0(VALU_DEP_2) | instskip(NEXT) | instid1(VALU_DEP_2)
	v_fma_f64 v[9:10], v[19:20], v[157:158], -v[9:10]
	v_fma_f64 v[11:12], v[21:22], v[157:158], v[11:12]
	ds_load_b128 v[19:22], v255 offset:18720
	ds_load_b128 v[27:30], v255 offset:20592
	s_waitcnt vmcnt(0) lgkmcnt(1)
	v_mul_f64 v[31:32], v[21:22], v[163:164]
	s_delay_alu instid0(VALU_DEP_1) | instskip(SKIP_1) | instid1(VALU_DEP_1)
	v_fma_f64 v[176:177], v[19:20], v[161:162], -v[31:32]
	v_mul_f64 v[19:20], v[19:20], v[163:164]
	v_fma_f64 v[182:183], v[21:22], v[161:162], v[19:20]
	v_lshrrev_b16 v19, 2, v178
	s_delay_alu instid0(VALU_DEP_1) | instskip(NEXT) | instid1(VALU_DEP_1)
	v_and_b32_e32 v19, 0xffff, v19
	v_mul_u32_u24_e32 v19, 0xd21, v19
	s_delay_alu instid0(VALU_DEP_1) | instskip(NEXT) | instid1(VALU_DEP_1)
	v_lshrrev_b32_e32 v19, 17, v19
	v_mul_lo_u16 v19, 0x9c, v19
	s_delay_alu instid0(VALU_DEP_1) | instskip(NEXT) | instid1(VALU_DEP_1)
	v_sub_nc_u16 v16, v178, v19
	v_lshlrev_b16 v19, 5, v16
	s_delay_alu instid0(VALU_DEP_1) | instskip(NEXT) | instid1(VALU_DEP_1)
	v_and_b32_e32 v19, 0xffff, v19
	v_add_co_u32 v19, s0, s10, v19
	s_delay_alu instid0(VALU_DEP_1)
	v_add_co_ci_u32_e64 v20, null, s11, 0, s0
	s_clause 0x1
	global_load_b128 v[246:249], v[19:20], off offset:2464
	global_load_b128 v[165:168], v[19:20], off offset:2480
	v_cmp_lt_u16_e64 s0, 38, v214
	s_waitcnt vmcnt(1)
	v_mul_f64 v[19:20], v[25:26], v[248:249]
	s_delay_alu instid0(VALU_DEP_1) | instskip(SKIP_1) | instid1(VALU_DEP_1)
	v_fma_f64 v[178:179], v[23:24], v[246:247], -v[19:20]
	v_mul_f64 v[19:20], v[23:24], v[248:249]
	v_fma_f64 v[186:187], v[25:26], v[246:247], v[19:20]
	s_waitcnt vmcnt(0) lgkmcnt(0)
	v_mul_f64 v[19:20], v[29:30], v[167:168]
	s_delay_alu instid0(VALU_DEP_1) | instskip(SKIP_2) | instid1(VALU_DEP_2)
	v_fma_f64 v[184:185], v[27:28], v[165:166], -v[19:20]
	v_mul_f64 v[19:20], v[27:28], v[167:168]
	v_add_f64 v[27:28], v[13:14], v[188:189]
	v_fma_f64 v[190:191], v[29:30], v[165:166], v[19:20]
	ds_load_b128 v[19:22], v255
	ds_load_b128 v[23:26], v255 offset:1872
	ds_load_b128 v[196:199], v255 offset:3744
	;; [unrolled: 1-line block ×3, first 2 shown]
	s_waitcnt lgkmcnt(0)
	s_barrier
	buffer_gl0_inv
	v_fma_f64 v[29:30], v[27:28], -0.5, v[19:20]
	v_add_f64 v[27:28], v[180:181], v[192:193]
	v_add_f64 v[19:20], v[19:20], v[13:14]
	v_add_f64 v[13:14], v[13:14], -v[188:189]
	v_add_f64 v[35:36], v[200:201], v[178:179]
	v_add_f64 v[37:38], v[186:187], -v[190:191]
	v_fma_f64 v[31:32], v[27:28], -0.5, v[21:22]
	v_add_f64 v[21:22], v[21:22], v[180:181]
	v_fma_f64 v[27:28], v[33:34], s[14:15], v[29:30]
	v_add_f64 v[19:20], v[19:20], v[188:189]
	v_add_f64 v[180:181], v[35:36], v[184:185]
	v_fma_f64 v[194:195], v[13:14], s[14:15], v[31:32]
	v_add_f64 v[21:22], v[21:22], v[192:193]
	v_fma_f64 v[192:193], v[33:34], s[12:13], v[29:30]
	v_fma_f64 v[29:30], v[13:14], s[12:13], v[31:32]
	v_add_f64 v[13:14], v[1:2], v[3:4]
	v_add_f64 v[31:32], v[5:6], v[7:8]
	v_add_f64 v[33:34], v[5:6], -v[7:8]
	ds_store_b128 v255, v[19:22]
	ds_store_b128 v255, v[27:30] offset:2496
	ds_store_b128 v255, v[192:195] offset:4992
	v_add_f64 v[19:20], v[196:197], v[9:10]
	v_fma_f64 v[13:14], v[13:14], -0.5, v[23:24]
	v_fma_f64 v[31:32], v[31:32], -0.5, v[25:26]
	v_add_f64 v[25:26], v[25:26], v[5:6]
	v_add_f64 v[23:24], v[23:24], v[1:2]
	v_add_f64 v[27:28], v[11:12], -v[182:183]
	s_delay_alu instid0(VALU_DEP_3) | instskip(NEXT) | instid1(VALU_DEP_3)
	v_add_f64 v[7:8], v[25:26], v[7:8]
	v_add_f64 v[5:6], v[23:24], v[3:4]
	v_add_f64 v[25:26], v[1:2], -v[3:4]
	v_fma_f64 v[1:2], v[33:34], s[14:15], v[13:14]
	v_fma_f64 v[23:24], v[33:34], s[12:13], v[13:14]
	v_add_f64 v[13:14], v[9:10], v[176:177]
	v_add_f64 v[9:10], v[9:10], -v[176:177]
	v_add_f64 v[33:34], v[202:203], v[186:187]
	v_fma_f64 v[3:4], v[25:26], s[12:13], v[31:32]
	v_fma_f64 v[25:26], v[25:26], s[14:15], v[31:32]
	v_add_f64 v[31:32], v[186:187], v[190:191]
	v_fma_f64 v[21:22], v[13:14], -0.5, v[196:197]
	v_add_f64 v[13:14], v[11:12], v[182:183]
	s_delay_alu instid0(VALU_DEP_3) | instskip(NEXT) | instid1(VALU_DEP_2)
	v_fma_f64 v[31:32], v[31:32], -0.5, v[202:203]
	v_fma_f64 v[29:30], v[13:14], -0.5, v[198:199]
	v_add_f64 v[13:14], v[198:199], v[11:12]
	v_add_f64 v[11:12], v[19:20], v[176:177]
	v_fma_f64 v[19:20], v[27:28], s[14:15], v[21:22]
	v_fma_f64 v[27:28], v[27:28], s[12:13], v[21:22]
	v_fma_f64 v[21:22], v[9:10], s[12:13], v[29:30]
	v_fma_f64 v[29:30], v[9:10], s[14:15], v[29:30]
	v_add_f64 v[9:10], v[178:179], v[184:185]
	v_add_f64 v[13:14], v[13:14], v[182:183]
	;; [unrolled: 1-line block ×3, first 2 shown]
	v_add_f64 v[33:34], v[178:179], -v[184:185]
	s_delay_alu instid0(VALU_DEP_4) | instskip(NEXT) | instid1(VALU_DEP_2)
	v_fma_f64 v[9:10], v[9:10], -0.5, v[200:201]
	v_fma_f64 v[178:179], v[33:34], s[12:13], v[31:32]
	v_fma_f64 v[186:187], v[33:34], s[14:15], v[31:32]
	s_delay_alu instid0(VALU_DEP_3) | instskip(SKIP_2) | instid1(VALU_DEP_1)
	v_fma_f64 v[176:177], v[37:38], s[14:15], v[9:10]
	v_fma_f64 v[184:185], v[37:38], s[12:13], v[9:10]
	v_cndmask_b32_e64 v9, 0, 0x1d4, s0
	v_add_lshl_u32 v217, v0, v9, 4
	v_mad_u16 v0, 0x1d4, v17, v18
	ds_store_b128 v217, v[5:8]
	ds_store_b128 v217, v[1:4] offset:2496
	ds_store_b128 v217, v[23:26] offset:4992
	v_and_b32_e32 v0, 0xffff, v0
	v_add_co_u32 v2, s0, s10, v39
	s_delay_alu instid0(VALU_DEP_1) | instskip(NEXT) | instid1(VALU_DEP_3)
	v_add_co_ci_u32_e64 v3, null, s11, 0, s0
	v_lshlrev_b32_e32 v169, 4, v0
	v_and_b32_e32 v0, 0xffff, v16
	ds_store_b128 v169, v[11:14]
	ds_store_b128 v169, v[19:22] offset:2496
	ds_store_b128 v169, v[27:30] offset:4992
	v_lshlrev_b32_e32 v254, 4, v0
	v_add_co_u32 v0, s0, 0x1000, v2
	s_delay_alu instid0(VALU_DEP_1) | instskip(SKIP_1) | instid1(VALU_DEP_1)
	v_add_co_ci_u32_e64 v1, s0, 0, v3, s0
	v_add_co_u32 v2, s0, 0x1d20, v2
	v_add_co_ci_u32_e64 v3, s0, 0, v3, s0
	ds_store_b128 v254, v[180:183] offset:14976
	ds_store_b128 v254, v[176:179] offset:17472
	;; [unrolled: 1-line block ×3, first 2 shown]
	s_waitcnt lgkmcnt(0)
	s_barrier
	buffer_gl0_inv
	s_clause 0x1
	global_load_b128 v[180:183], v[0:1], off offset:3360
	global_load_b128 v[176:179], v[2:3], off offset:16
	ds_load_b128 v[0:3], v255 offset:7488
	ds_load_b128 v[4:7], v255 offset:9360
	s_waitcnt vmcnt(1) lgkmcnt(1)
	v_mul_f64 v[8:9], v[2:3], v[182:183]
	s_delay_alu instid0(VALU_DEP_1) | instskip(SKIP_1) | instid1(VALU_DEP_1)
	v_fma_f64 v[12:13], v[0:1], v[180:181], -v[8:9]
	v_mul_f64 v[0:1], v[0:1], v[182:183]
	v_fma_f64 v[16:17], v[2:3], v[180:181], v[0:1]
	ds_load_b128 v[0:3], v255 offset:14976
	ds_load_b128 v[8:11], v255 offset:16848
	s_waitcnt vmcnt(0) lgkmcnt(1)
	v_mul_f64 v[18:19], v[2:3], v[178:179]
	s_delay_alu instid0(VALU_DEP_1) | instskip(SKIP_1) | instid1(VALU_DEP_1)
	v_fma_f64 v[18:19], v[0:1], v[176:177], -v[18:19]
	v_mul_f64 v[0:1], v[0:1], v[178:179]
	v_fma_f64 v[20:21], v[2:3], v[176:177], v[0:1]
	v_lshlrev_b32_e32 v0, 4, v40
	s_delay_alu instid0(VALU_DEP_1) | instskip(NEXT) | instid1(VALU_DEP_1)
	v_add_co_u32 v2, s0, s10, v0
	v_add_co_ci_u32_e64 v3, null, s11, 0, s0
	s_delay_alu instid0(VALU_DEP_2) | instskip(NEXT) | instid1(VALU_DEP_1)
	v_add_co_u32 v0, s0, 0x1000, v2
	v_add_co_ci_u32_e64 v1, s0, 0, v3, s0
	v_add_co_u32 v2, s0, 0x1d20, v2
	s_delay_alu instid0(VALU_DEP_1)
	v_add_co_ci_u32_e64 v3, s0, 0, v3, s0
	s_clause 0x1
	global_load_b128 v[188:191], v[0:1], off offset:3360
	global_load_b128 v[184:187], v[2:3], off offset:16
	s_waitcnt vmcnt(1)
	v_mul_f64 v[0:1], v[6:7], v[190:191]
	s_delay_alu instid0(VALU_DEP_1) | instskip(SKIP_1) | instid1(VALU_DEP_1)
	v_fma_f64 v[22:23], v[4:5], v[188:189], -v[0:1]
	v_mul_f64 v[0:1], v[4:5], v[190:191]
	v_fma_f64 v[24:25], v[6:7], v[188:189], v[0:1]
	s_waitcnt vmcnt(0) lgkmcnt(0)
	v_mul_f64 v[0:1], v[10:11], v[186:187]
	s_delay_alu instid0(VALU_DEP_1) | instskip(SKIP_1) | instid1(VALU_DEP_1)
	v_fma_f64 v[26:27], v[8:9], v[184:185], -v[0:1]
	v_mul_f64 v[0:1], v[8:9], v[186:187]
	v_fma_f64 v[28:29], v[10:11], v[184:185], v[0:1]
	v_lshlrev_b32_e32 v0, 5, v15
	s_delay_alu instid0(VALU_DEP_1) | instskip(NEXT) | instid1(VALU_DEP_1)
	v_add_co_u32 v2, s0, s10, v0
	v_add_co_ci_u32_e64 v3, null, s11, 0, s0
	s_delay_alu instid0(VALU_DEP_2) | instskip(NEXT) | instid1(VALU_DEP_1)
	v_add_co_u32 v0, s0, 0x1000, v2
	v_add_co_ci_u32_e64 v1, s0, 0, v3, s0
	v_add_co_u32 v2, s0, 0x1d20, v2
	s_delay_alu instid0(VALU_DEP_1)
	v_add_co_ci_u32_e64 v3, s0, 0, v3, s0
	s_clause 0x1
	global_load_b128 v[192:195], v[0:1], off offset:3360
	global_load_b128 v[196:199], v[2:3], off offset:16
	ds_load_b128 v[0:3], v255 offset:11232
	ds_load_b128 v[4:7], v255 offset:13104
	s_waitcnt vmcnt(1) lgkmcnt(1)
	v_mul_f64 v[8:9], v[2:3], v[194:195]
	s_delay_alu instid0(VALU_DEP_1) | instskip(SKIP_1) | instid1(VALU_DEP_1)
	v_fma_f64 v[32:33], v[0:1], v[192:193], -v[8:9]
	v_mul_f64 v[0:1], v[0:1], v[194:195]
	v_fma_f64 v[34:35], v[2:3], v[192:193], v[0:1]
	ds_load_b128 v[0:3], v255 offset:18720
	ds_load_b128 v[8:11], v255 offset:20592
	scratch_load_b32 v140, off, off offset:272 ; 4-byte Folded Reload
	s_waitcnt vmcnt(1) lgkmcnt(1)
	v_mul_f64 v[14:15], v[2:3], v[198:199]
	s_delay_alu instid0(VALU_DEP_1) | instskip(SKIP_1) | instid1(VALU_DEP_2)
	v_fma_f64 v[36:37], v[0:1], v[196:197], -v[14:15]
	v_mul_f64 v[0:1], v[0:1], v[198:199]
	v_add_f64 v[172:173], v[32:33], v[36:37]
	s_delay_alu instid0(VALU_DEP_2) | instskip(NEXT) | instid1(VALU_DEP_1)
	v_fma_f64 v[38:39], v[2:3], v[196:197], v[0:1]
	v_add_f64 v[174:175], v[34:35], v[38:39]
	s_waitcnt vmcnt(0)
	v_add_co_u32 v2, s0, s10, v140
	s_delay_alu instid0(VALU_DEP_1) | instskip(NEXT) | instid1(VALU_DEP_2)
	v_add_co_ci_u32_e64 v3, null, s11, 0, s0
	v_add_co_u32 v0, s0, 0x1000, v2
	s_delay_alu instid0(VALU_DEP_1) | instskip(SKIP_1) | instid1(VALU_DEP_1)
	v_add_co_ci_u32_e64 v1, s0, 0, v3, s0
	v_add_co_u32 v2, s0, 0x1d20, v2
	v_add_co_ci_u32_e64 v3, s0, 0, v3, s0
	s_clause 0x1
	global_load_b128 v[204:207], v[0:1], off offset:3360
	global_load_b128 v[200:203], v[2:3], off offset:16
	s_waitcnt vmcnt(1)
	v_mul_f64 v[0:1], v[6:7], v[206:207]
	s_delay_alu instid0(VALU_DEP_1) | instskip(SKIP_1) | instid1(VALU_DEP_1)
	v_fma_f64 v[40:41], v[4:5], v[204:205], -v[0:1]
	v_mul_f64 v[0:1], v[4:5], v[206:207]
	v_fma_f64 v[42:43], v[6:7], v[204:205], v[0:1]
	s_waitcnt vmcnt(0) lgkmcnt(0)
	v_mul_f64 v[0:1], v[10:11], v[202:203]
	s_delay_alu instid0(VALU_DEP_1) | instskip(SKIP_2) | instid1(VALU_DEP_2)
	v_fma_f64 v[44:45], v[8:9], v[200:201], -v[0:1]
	v_mul_f64 v[0:1], v[8:9], v[202:203]
	v_add_f64 v[8:9], v[12:13], v[18:19]
	v_fma_f64 v[46:47], v[10:11], v[200:201], v[0:1]
	ds_load_b128 v[0:3], v255
	ds_load_b128 v[4:7], v255 offset:1872
	s_waitcnt lgkmcnt(1)
	v_fma_f64 v[10:11], v[8:9], -0.5, v[0:1]
	v_add_f64 v[8:9], v[16:17], v[20:21]
	v_add_f64 v[0:1], v[0:1], v[12:13]
	s_delay_alu instid0(VALU_DEP_2) | instskip(SKIP_2) | instid1(VALU_DEP_4)
	v_fma_f64 v[14:15], v[8:9], -0.5, v[2:3]
	v_add_f64 v[2:3], v[2:3], v[16:17]
	v_add_f64 v[16:17], v[16:17], -v[20:21]
	v_add_f64 v[0:1], v[0:1], v[18:19]
	v_add_f64 v[18:19], v[12:13], -v[18:19]
	s_delay_alu instid0(VALU_DEP_4) | instskip(NEXT) | instid1(VALU_DEP_4)
	v_add_f64 v[2:3], v[2:3], v[20:21]
	v_fma_f64 v[8:9], v[16:17], s[14:15], v[10:11]
	v_fma_f64 v[12:13], v[16:17], s[12:13], v[10:11]
	v_add_f64 v[16:17], v[22:23], v[26:27]
	v_fma_f64 v[10:11], v[18:19], s[12:13], v[14:15]
	v_fma_f64 v[14:15], v[18:19], s[14:15], v[14:15]
	v_add_f64 v[20:21], v[24:25], -v[28:29]
	s_waitcnt lgkmcnt(0)
	s_delay_alu instid0(VALU_DEP_4) | instskip(SKIP_3) | instid1(VALU_DEP_3)
	v_fma_f64 v[18:19], v[16:17], -0.5, v[4:5]
	v_add_f64 v[16:17], v[24:25], v[28:29]
	v_add_f64 v[4:5], v[4:5], v[22:23]
	v_add_f64 v[22:23], v[22:23], -v[26:27]
	v_fma_f64 v[30:31], v[16:17], -0.5, v[6:7]
	v_add_f64 v[6:7], v[6:7], v[24:25]
	s_delay_alu instid0(VALU_DEP_4)
	v_add_f64 v[4:5], v[4:5], v[26:27]
	v_fma_f64 v[16:17], v[20:21], s[14:15], v[18:19]
	v_fma_f64 v[20:21], v[20:21], s[12:13], v[18:19]
	;; [unrolled: 1-line block ×3, first 2 shown]
	v_add_f64 v[6:7], v[6:7], v[28:29]
	v_fma_f64 v[22:23], v[22:23], s[14:15], v[30:31]
	ds_load_b128 v[24:27], v255 offset:3744
	ds_load_b128 v[28:31], v255 offset:5616
	s_waitcnt lgkmcnt(1)
	v_fma_f64 v[172:173], v[172:173], -0.5, v[24:25]
	v_fma_f64 v[174:175], v[174:175], -0.5, v[26:27]
	v_add_f64 v[26:27], v[26:27], v[34:35]
	v_add_f64 v[24:25], v[24:25], v[32:33]
	v_add_f64 v[34:35], v[34:35], -v[38:39]
	v_add_f64 v[32:33], v[32:33], -v[36:37]
	s_delay_alu instid0(VALU_DEP_4) | instskip(NEXT) | instid1(VALU_DEP_4)
	v_add_f64 v[26:27], v[26:27], v[38:39]
	v_add_f64 v[24:25], v[24:25], v[36:37]
	s_delay_alu instid0(VALU_DEP_4)
	v_fma_f64 v[208:209], v[34:35], s[14:15], v[172:173]
	v_fma_f64 v[218:219], v[34:35], s[12:13], v[172:173]
	v_fma_f64 v[210:211], v[32:33], s[12:13], v[174:175]
	v_fma_f64 v[220:221], v[32:33], s[14:15], v[174:175]
	v_add_f64 v[32:33], v[40:41], v[44:45]
	v_add_f64 v[34:35], v[42:43], v[46:47]
	v_add_f64 v[36:37], v[42:43], -v[46:47]
	v_add_f64 v[38:39], v[40:41], -v[44:45]
	s_waitcnt lgkmcnt(0)
	s_delay_alu instid0(VALU_DEP_4) | instskip(NEXT) | instid1(VALU_DEP_4)
	v_fma_f64 v[32:33], v[32:33], -0.5, v[28:29]
	v_fma_f64 v[34:35], v[34:35], -0.5, v[30:31]
	v_add_f64 v[30:31], v[30:31], v[42:43]
	v_add_f64 v[28:29], v[28:29], v[40:41]
	s_delay_alu instid0(VALU_DEP_4) | instskip(NEXT) | instid1(VALU_DEP_4)
	v_fma_f64 v[222:223], v[36:37], s[14:15], v[32:33]
	v_fma_f64 v[224:225], v[38:39], s[12:13], v[34:35]
	s_delay_alu instid0(VALU_DEP_4) | instskip(NEXT) | instid1(VALU_DEP_4)
	v_add_f64 v[30:31], v[30:31], v[46:47]
	v_add_f64 v[28:29], v[28:29], v[44:45]
	v_fma_f64 v[226:227], v[36:37], s[12:13], v[32:33]
	v_fma_f64 v[228:229], v[38:39], s[14:15], v[34:35]
	ds_store_b128 v255, v[0:3]
	ds_store_b128 v255, v[4:7] offset:1872
	ds_store_b128 v255, v[24:27] offset:3744
	;; [unrolled: 1-line block ×11, first 2 shown]
	v_lshlrev_b32_e32 v0, 4, v214
	s_waitcnt lgkmcnt(0)
	s_barrier
	buffer_gl0_inv
	v_add_co_u32 v36, s0, s8, v0
	s_delay_alu instid0(VALU_DEP_1) | instskip(NEXT) | instid1(VALU_DEP_2)
	v_add_co_ci_u32_e64 v37, null, s9, 0, s0
	v_add_co_u32 v0, s0, 0x5000, v36
	s_delay_alu instid0(VALU_DEP_1) | instskip(SKIP_1) | instid1(VALU_DEP_1)
	v_add_co_ci_u32_e64 v1, s0, 0, v37, s0
	v_add_co_u32 v24, s0, 0x8000, v36
	v_add_co_ci_u32_e64 v25, s0, 0, v37, s0
	s_clause 0x1
	global_load_b128 v[0:3], v[0:1], off offset:1984
	global_load_b128 v[4:7], v[24:25], off offset:928
	ds_load_b128 v[8:11], v255
	ds_load_b128 v[12:15], v255 offset:1872
	s_waitcnt vmcnt(1) lgkmcnt(1)
	v_mul_f64 v[16:17], v[10:11], v[2:3]
	v_mul_f64 v[2:3], v[8:9], v[2:3]
	s_delay_alu instid0(VALU_DEP_2) | instskip(NEXT) | instid1(VALU_DEP_2)
	v_fma_f64 v[8:9], v[8:9], v[0:1], -v[16:17]
	v_fma_f64 v[10:11], v[10:11], v[0:1], v[2:3]
	ds_load_b128 v[0:3], v255 offset:11232
	ds_load_b128 v[16:19], v255 offset:13104
	s_waitcnt vmcnt(0) lgkmcnt(1)
	v_mul_f64 v[20:21], v[2:3], v[6:7]
	v_mul_f64 v[6:7], v[0:1], v[6:7]
	s_delay_alu instid0(VALU_DEP_2) | instskip(SKIP_1) | instid1(VALU_DEP_1)
	v_fma_f64 v[0:1], v[0:1], v[4:5], -v[20:21]
	v_add_co_u32 v20, s0, 0x57c0, v36
	v_add_co_ci_u32_e64 v21, s0, 0, v37, s0
	s_delay_alu instid0(VALU_DEP_4) | instskip(SKIP_4) | instid1(VALU_DEP_1)
	v_fma_f64 v[2:3], v[2:3], v[4:5], v[6:7]
	s_clause 0x1
	global_load_b128 v[4:7], v[20:21], off offset:1872
	global_load_b128 v[20:23], v[20:21], off offset:3744
	v_add_co_u32 v32, s0, 0x9000, v36
	v_add_co_ci_u32_e64 v33, s0, 0, v37, s0
	s_waitcnt vmcnt(1)
	v_mul_f64 v[26:27], v[14:15], v[6:7]
	v_mul_f64 v[6:7], v[12:13], v[6:7]
	s_delay_alu instid0(VALU_DEP_2) | instskip(NEXT) | instid1(VALU_DEP_2)
	v_fma_f64 v[12:13], v[12:13], v[4:5], -v[26:27]
	v_fma_f64 v[14:15], v[14:15], v[4:5], v[6:7]
	s_clause 0x1
	global_load_b128 v[4:7], v[24:25], off offset:2800
	global_load_b128 v[24:27], v[32:33], off offset:576
	s_waitcnt vmcnt(1) lgkmcnt(0)
	v_mul_f64 v[28:29], v[18:19], v[6:7]
	v_mul_f64 v[6:7], v[16:17], v[6:7]
	s_delay_alu instid0(VALU_DEP_2) | instskip(NEXT) | instid1(VALU_DEP_2)
	v_fma_f64 v[16:17], v[16:17], v[4:5], -v[28:29]
	v_fma_f64 v[18:19], v[18:19], v[4:5], v[6:7]
	ds_load_b128 v[4:7], v255 offset:3744
	ds_load_b128 v[28:31], v255 offset:5616
	s_waitcnt lgkmcnt(1)
	v_mul_f64 v[34:35], v[6:7], v[22:23]
	v_mul_f64 v[22:23], v[4:5], v[22:23]
	s_delay_alu instid0(VALU_DEP_2) | instskip(NEXT) | instid1(VALU_DEP_2)
	v_fma_f64 v[4:5], v[4:5], v[20:21], -v[34:35]
	v_fma_f64 v[6:7], v[6:7], v[20:21], v[22:23]
	ds_load_b128 v[20:23], v255 offset:14976
	ds_load_b128 v[208:211], v255 offset:16848
	s_waitcnt vmcnt(0) lgkmcnt(1)
	v_mul_f64 v[34:35], v[22:23], v[26:27]
	v_mul_f64 v[26:27], v[20:21], v[26:27]
	s_delay_alu instid0(VALU_DEP_2) | instskip(NEXT) | instid1(VALU_DEP_2)
	v_fma_f64 v[20:21], v[20:21], v[24:25], -v[34:35]
	v_fma_f64 v[22:23], v[22:23], v[24:25], v[26:27]
	v_add_co_u32 v24, s0, 0x6000, v36
	s_delay_alu instid0(VALU_DEP_1)
	v_add_co_ci_u32_e64 v25, s0, 0, v37, s0
	s_clause 0x1
	global_load_b128 v[24:27], v[24:25], off offset:3504
	global_load_b128 v[218:221], v[32:33], off offset:2448
	s_waitcnt vmcnt(1)
	v_mul_f64 v[32:33], v[30:31], v[26:27]
	v_mul_f64 v[34:35], v[28:29], v[26:27]
	s_delay_alu instid0(VALU_DEP_2) | instskip(NEXT) | instid1(VALU_DEP_2)
	v_fma_f64 v[26:27], v[28:29], v[24:25], -v[32:33]
	v_fma_f64 v[28:29], v[30:31], v[24:25], v[34:35]
	s_waitcnt vmcnt(0) lgkmcnt(0)
	v_mul_f64 v[24:25], v[210:211], v[220:221]
	v_mul_f64 v[30:31], v[208:209], v[220:221]
	s_delay_alu instid0(VALU_DEP_2) | instskip(SKIP_1) | instid1(VALU_DEP_1)
	v_fma_f64 v[208:209], v[208:209], v[218:219], -v[24:25]
	v_add_co_u32 v24, s0, 0x7000, v36
	v_add_co_ci_u32_e64 v25, s0, 0, v37, s0
	s_delay_alu instid0(VALU_DEP_4)
	v_fma_f64 v[210:211], v[210:211], v[218:219], v[30:31]
	s_clause 0x1
	global_load_b128 v[218:221], v[24:25], off offset:1280
	global_load_b128 v[222:225], v[24:25], off offset:3152
	ds_load_b128 v[226:229], v255 offset:7488
	ds_load_b128 v[230:233], v255 offset:9360
	s_waitcnt vmcnt(1) lgkmcnt(1)
	v_mul_f64 v[24:25], v[228:229], v[220:221]
	v_mul_f64 v[30:31], v[226:227], v[220:221]
	s_delay_alu instid0(VALU_DEP_2) | instskip(SKIP_1) | instid1(VALU_DEP_1)
	v_fma_f64 v[226:227], v[226:227], v[218:219], -v[24:25]
	v_add_co_u32 v24, s0, 0xa000, v36
	v_add_co_ci_u32_e64 v25, s0, 0, v37, s0
	s_delay_alu instid0(VALU_DEP_4)
	v_fma_f64 v[228:229], v[228:229], v[218:219], v[30:31]
	s_clause 0x1
	global_load_b128 v[218:221], v[24:25], off offset:224
	global_load_b128 v[234:237], v[24:25], off offset:2096
	ds_load_b128 v[238:241], v255 offset:18720
	ds_load_b128 v[242:245], v255 offset:20592
	s_waitcnt vmcnt(1) lgkmcnt(1)
	v_mul_f64 v[24:25], v[240:241], v[220:221]
	v_mul_f64 v[30:31], v[238:239], v[220:221]
	s_delay_alu instid0(VALU_DEP_2) | instskip(NEXT) | instid1(VALU_DEP_2)
	v_fma_f64 v[238:239], v[238:239], v[218:219], -v[24:25]
	v_fma_f64 v[240:241], v[240:241], v[218:219], v[30:31]
	v_mul_f64 v[24:25], v[232:233], v[224:225]
	v_mul_f64 v[30:31], v[230:231], v[224:225]
	s_delay_alu instid0(VALU_DEP_2) | instskip(NEXT) | instid1(VALU_DEP_2)
	v_fma_f64 v[218:219], v[230:231], v[222:223], -v[24:25]
	v_fma_f64 v[220:221], v[232:233], v[222:223], v[30:31]
	s_waitcnt vmcnt(0) lgkmcnt(0)
	v_mul_f64 v[24:25], v[244:245], v[236:237]
	v_mul_f64 v[30:31], v[242:243], v[236:237]
	s_delay_alu instid0(VALU_DEP_2) | instskip(NEXT) | instid1(VALU_DEP_2)
	v_fma_f64 v[222:223], v[242:243], v[234:235], -v[24:25]
	v_fma_f64 v[224:225], v[244:245], v[234:235], v[30:31]
	ds_store_b128 v255, v[8:11]
	ds_store_b128 v255, v[12:15] offset:1872
	ds_store_b128 v255, v[0:3] offset:11232
	;; [unrolled: 1-line block ×11, first 2 shown]
	s_waitcnt lgkmcnt(0)
	s_barrier
	buffer_gl0_inv
	ds_load_b128 v[0:3], v255 offset:11232
	ds_load_b128 v[4:7], v255
	ds_load_b128 v[8:11], v255 offset:1872
	ds_load_b128 v[12:15], v255 offset:13104
	ds_load_b128 v[16:19], v255 offset:3744
	ds_load_b128 v[20:23], v255 offset:5616
	ds_load_b128 v[24:27], v255 offset:14976
	ds_load_b128 v[28:31], v255 offset:16848
	ds_load_b128 v[208:211], v255 offset:7488
	ds_load_b128 v[218:221], v255 offset:9360
	ds_load_b128 v[222:225], v255 offset:18720
	ds_load_b128 v[226:229], v255 offset:20592
	s_waitcnt lgkmcnt(0)
	s_barrier
	buffer_gl0_inv
	v_add_f64 v[0:1], v[4:5], -v[0:1]
	v_add_f64 v[2:3], v[6:7], -v[2:3]
	s_delay_alu instid0(VALU_DEP_2) | instskip(NEXT) | instid1(VALU_DEP_2)
	v_fma_f64 v[4:5], v[4:5], 2.0, -v[0:1]
	v_fma_f64 v[6:7], v[6:7], 2.0, -v[2:3]
	ds_store_b128 v212, v[0:3] offset:16
	ds_store_b128 v212, v[4:7]
	v_add_f64 v[0:1], v[8:9], -v[12:13]
	v_add_f64 v[2:3], v[10:11], -v[14:15]
	s_delay_alu instid0(VALU_DEP_2)
	v_fma_f64 v[4:5], v[8:9], 2.0, -v[0:1]
	scratch_load_b32 v8, off, off offset:280 ; 4-byte Folded Reload
	v_fma_f64 v[6:7], v[10:11], 2.0, -v[2:3]
	s_waitcnt vmcnt(0)
	ds_store_b128 v8, v[4:7]
	ds_store_b128 v8, v[0:3] offset:16
	scratch_load_b32 v8, off, off offset:276 ; 4-byte Folded Reload
	v_add_f64 v[0:1], v[16:17], -v[24:25]
	v_add_f64 v[2:3], v[18:19], -v[26:27]
	s_delay_alu instid0(VALU_DEP_2) | instskip(NEXT) | instid1(VALU_DEP_2)
	v_fma_f64 v[4:5], v[16:17], 2.0, -v[0:1]
	v_fma_f64 v[6:7], v[18:19], 2.0, -v[2:3]
	s_waitcnt vmcnt(0)
	ds_store_b128 v8, v[4:7]
	ds_store_b128 v8, v[0:3] offset:16
	v_add_f64 v[0:1], v[20:21], -v[28:29]
	v_add_f64 v[2:3], v[22:23], -v[30:31]
	s_delay_alu instid0(VALU_DEP_2) | instskip(NEXT) | instid1(VALU_DEP_2)
	v_fma_f64 v[4:5], v[20:21], 2.0, -v[0:1]
	v_fma_f64 v[6:7], v[22:23], 2.0, -v[2:3]
	ds_store_b128 v140, v[4:7]
	ds_store_b128 v140, v[0:3] offset:16
	scratch_load_b32 v8, off, off offset:284 ; 4-byte Folded Reload
	v_add_f64 v[0:1], v[208:209], -v[222:223]
	v_add_f64 v[2:3], v[210:211], -v[224:225]
	s_delay_alu instid0(VALU_DEP_2) | instskip(NEXT) | instid1(VALU_DEP_2)
	v_fma_f64 v[4:5], v[208:209], 2.0, -v[0:1]
	v_fma_f64 v[6:7], v[210:211], 2.0, -v[2:3]
	s_waitcnt vmcnt(0)
	ds_store_b128 v8, v[4:7]
	ds_store_b128 v8, v[0:3] offset:16
	scratch_load_b32 v8, off, off offset:268 ; 4-byte Folded Reload
	v_add_f64 v[0:1], v[218:219], -v[226:227]
	v_add_f64 v[2:3], v[220:221], -v[228:229]
	s_delay_alu instid0(VALU_DEP_2) | instskip(NEXT) | instid1(VALU_DEP_2)
	v_fma_f64 v[4:5], v[218:219], 2.0, -v[0:1]
	v_fma_f64 v[6:7], v[220:221], 2.0, -v[2:3]
	s_waitcnt vmcnt(0)
	ds_store_b128 v8, v[4:7]
	ds_store_b128 v8, v[0:3] offset:16
	s_waitcnt lgkmcnt(0)
	s_barrier
	buffer_gl0_inv
	ds_load_b128 v[0:3], v255 offset:16848
	ds_load_b128 v[4:7], v255 offset:14976
	s_waitcnt lgkmcnt(1)
	v_mul_f64 v[8:9], v[62:63], v[2:3]
	s_delay_alu instid0(VALU_DEP_1) | instskip(SKIP_1) | instid1(VALU_DEP_1)
	v_fma_f64 v[28:29], v[60:61], v[0:1], v[8:9]
	v_mul_f64 v[0:1], v[62:63], v[0:1]
	v_fma_f64 v[30:31], v[60:61], v[2:3], -v[0:1]
	ds_load_b128 v[0:3], v255 offset:11232
	ds_load_b128 v[8:11], v255 offset:13104
	s_waitcnt lgkmcnt(1)
	v_mul_f64 v[12:13], v[58:59], v[2:3]
	s_delay_alu instid0(VALU_DEP_1) | instskip(SKIP_1) | instid1(VALU_DEP_1)
	v_fma_f64 v[12:13], v[56:57], v[0:1], v[12:13]
	v_mul_f64 v[0:1], v[58:59], v[0:1]
	v_fma_f64 v[14:15], v[56:57], v[2:3], -v[0:1]
	v_mul_f64 v[0:1], v[58:59], v[6:7]
	s_delay_alu instid0(VALU_DEP_1) | instskip(SKIP_1) | instid1(VALU_DEP_1)
	v_fma_f64 v[32:33], v[56:57], v[4:5], v[0:1]
	v_mul_f64 v[0:1], v[58:59], v[4:5]
	v_fma_f64 v[34:35], v[56:57], v[6:7], -v[0:1]
	ds_load_b128 v[0:3], v255 offset:18720
	ds_load_b128 v[4:7], v255 offset:20592
	s_waitcnt lgkmcnt(1)
	v_mul_f64 v[16:17], v[58:59], v[2:3]
	s_delay_alu instid0(VALU_DEP_1) | instskip(SKIP_1) | instid1(VALU_DEP_1)
	v_fma_f64 v[36:37], v[56:57], v[0:1], v[16:17]
	v_mul_f64 v[0:1], v[58:59], v[0:1]
	v_fma_f64 v[38:39], v[56:57], v[2:3], -v[0:1]
	scratch_load_b64 v[2:3], off, off offset:240 ; 8-byte Folded Reload
	s_waitcnt vmcnt(0) lgkmcnt(0)
	v_mul_f64 v[0:1], v[2:3], v[6:7]
	v_mul_f64 v[2:3], v[2:3], v[4:5]
	s_delay_alu instid0(VALU_DEP_2)
	v_fma_f64 v[40:41], v[52:53], v[4:5], v[0:1]
	scratch_load_b64 v[4:5], off, off offset:224 ; 8-byte Folded Reload
	v_fma_f64 v[42:43], v[52:53], v[6:7], -v[2:3]
	v_mul_f64 v[0:1], v[54:55], v[10:11]
	v_mul_f64 v[2:3], v[54:55], v[8:9]
	s_waitcnt vmcnt(0)
	s_delay_alu instid0(VALU_DEP_2) | instskip(NEXT) | instid1(VALU_DEP_2)
	v_fma_f64 v[44:45], v[4:5], v[8:9], v[0:1]
	v_fma_f64 v[46:47], v[4:5], v[10:11], -v[2:3]
	ds_load_b128 v[0:3], v255
	ds_load_b128 v[4:7], v255 offset:1872
	s_waitcnt lgkmcnt(1)
	v_add_f64 v[8:9], v[0:1], -v[12:13]
	v_add_f64 v[10:11], v[2:3], -v[14:15]
	ds_load_b128 v[12:15], v255 offset:3744
	ds_load_b128 v[16:19], v255 offset:5616
	;; [unrolled: 1-line block ×4, first 2 shown]
	s_waitcnt lgkmcnt(0)
	s_barrier
	buffer_gl0_inv
	scratch_load_b32 v52, off, off offset:308 ; 4-byte Folded Reload
	v_fma_f64 v[0:1], v[0:1], 2.0, -v[8:9]
	v_fma_f64 v[2:3], v[2:3], 2.0, -v[10:11]
	s_waitcnt vmcnt(0)
	ds_store_b128 v52, v[8:11] offset:32
	ds_store_b128 v52, v[0:3]
	scratch_load_b32 v8, off, off offset:304 ; 4-byte Folded Reload
	v_add_f64 v[0:1], v[4:5], -v[44:45]
	v_add_f64 v[2:3], v[6:7], -v[46:47]
	s_delay_alu instid0(VALU_DEP_2) | instskip(NEXT) | instid1(VALU_DEP_2)
	v_fma_f64 v[4:5], v[4:5], 2.0, -v[0:1]
	v_fma_f64 v[6:7], v[6:7], 2.0, -v[2:3]
	s_waitcnt vmcnt(0)
	ds_store_b128 v8, v[4:7]
	ds_store_b128 v8, v[0:3] offset:32
	scratch_load_b32 v8, off, off offset:300 ; 4-byte Folded Reload
	v_add_f64 v[0:1], v[12:13], -v[32:33]
	v_add_f64 v[2:3], v[14:15], -v[34:35]
	s_delay_alu instid0(VALU_DEP_2) | instskip(NEXT) | instid1(VALU_DEP_2)
	v_fma_f64 v[4:5], v[12:13], 2.0, -v[0:1]
	v_fma_f64 v[6:7], v[14:15], 2.0, -v[2:3]
	s_waitcnt vmcnt(0)
	ds_store_b128 v8, v[4:7]
	ds_store_b128 v8, v[0:3] offset:32
	;; [unrolled: 9-line block ×5, first 2 shown]
	s_waitcnt lgkmcnt(0)
	s_barrier
	buffer_gl0_inv
	ds_load_b128 v[0:3], v255 offset:7488
	ds_load_b128 v[4:7], v255 offset:9360
	s_waitcnt lgkmcnt(1)
	v_mul_f64 v[8:9], v[82:83], v[2:3]
	s_delay_alu instid0(VALU_DEP_1) | instskip(SKIP_1) | instid1(VALU_DEP_1)
	v_fma_f64 v[12:13], v[80:81], v[0:1], v[8:9]
	v_mul_f64 v[0:1], v[82:83], v[0:1]
	v_fma_f64 v[14:15], v[80:81], v[2:3], -v[0:1]
	ds_load_b128 v[0:3], v255 offset:14976
	ds_load_b128 v[8:11], v255 offset:16848
	s_waitcnt lgkmcnt(1)
	v_mul_f64 v[16:17], v[66:67], v[2:3]
	s_delay_alu instid0(VALU_DEP_1) | instskip(SKIP_1) | instid1(VALU_DEP_1)
	v_fma_f64 v[16:17], v[64:65], v[0:1], v[16:17]
	v_mul_f64 v[0:1], v[66:67], v[0:1]
	v_fma_f64 v[18:19], v[64:65], v[2:3], -v[0:1]
	v_mul_f64 v[0:1], v[94:95], v[6:7]
	s_delay_alu instid0(VALU_DEP_2) | instskip(NEXT) | instid1(VALU_DEP_2)
	v_add_f64 v[42:43], v[14:15], v[18:19]
	v_fma_f64 v[20:21], v[92:93], v[4:5], v[0:1]
	v_mul_f64 v[0:1], v[94:95], v[4:5]
	s_delay_alu instid0(VALU_DEP_1) | instskip(SKIP_2) | instid1(VALU_DEP_1)
	v_fma_f64 v[22:23], v[92:93], v[6:7], -v[0:1]
	s_waitcnt lgkmcnt(0)
	v_mul_f64 v[0:1], v[90:91], v[10:11]
	v_fma_f64 v[24:25], v[88:89], v[8:9], v[0:1]
	v_mul_f64 v[0:1], v[90:91], v[8:9]
	s_delay_alu instid0(VALU_DEP_1) | instskip(SKIP_4) | instid1(VALU_DEP_1)
	v_fma_f64 v[26:27], v[88:89], v[10:11], -v[0:1]
	ds_load_b128 v[0:3], v255 offset:11232
	ds_load_b128 v[4:7], v255 offset:13104
	s_waitcnt lgkmcnt(1)
	v_mul_f64 v[8:9], v[86:87], v[2:3]
	v_fma_f64 v[28:29], v[84:85], v[0:1], v[8:9]
	v_mul_f64 v[0:1], v[86:87], v[0:1]
	s_delay_alu instid0(VALU_DEP_1) | instskip(SKIP_4) | instid1(VALU_DEP_1)
	v_fma_f64 v[30:31], v[84:85], v[2:3], -v[0:1]
	ds_load_b128 v[0:3], v255 offset:18720
	ds_load_b128 v[8:11], v255 offset:20592
	s_waitcnt lgkmcnt(1)
	v_mul_f64 v[32:33], v[74:75], v[2:3]
	v_fma_f64 v[32:33], v[72:73], v[0:1], v[32:33]
	v_mul_f64 v[0:1], v[74:75], v[0:1]
	s_delay_alu instid0(VALU_DEP_1) | instskip(SKIP_1) | instid1(VALU_DEP_1)
	v_fma_f64 v[34:35], v[72:73], v[2:3], -v[0:1]
	v_mul_f64 v[0:1], v[78:79], v[6:7]
	v_fma_f64 v[36:37], v[76:77], v[4:5], v[0:1]
	v_mul_f64 v[0:1], v[78:79], v[4:5]
	s_delay_alu instid0(VALU_DEP_1) | instskip(SKIP_2) | instid1(VALU_DEP_1)
	v_fma_f64 v[38:39], v[76:77], v[6:7], -v[0:1]
	s_waitcnt lgkmcnt(0)
	v_mul_f64 v[0:1], v[70:71], v[10:11]
	v_fma_f64 v[40:41], v[68:69], v[8:9], v[0:1]
	v_mul_f64 v[0:1], v[70:71], v[8:9]
	s_delay_alu instid0(VALU_DEP_1)
	v_fma_f64 v[8:9], v[68:69], v[10:11], -v[0:1]
	v_add_f64 v[10:11], v[12:13], v[16:17]
	ds_load_b128 v[0:3], v255
	ds_load_b128 v[4:7], v255 offset:1872
	s_waitcnt lgkmcnt(1)
	v_fma_f64 v[42:43], v[42:43], -0.5, v[2:3]
	v_add_f64 v[2:3], v[2:3], v[14:15]
	v_add_f64 v[14:15], v[14:15], -v[18:19]
	v_fma_f64 v[10:11], v[10:11], -0.5, v[0:1]
	v_add_f64 v[0:1], v[0:1], v[12:13]
	s_delay_alu instid0(VALU_DEP_4) | instskip(SKIP_1) | instid1(VALU_DEP_4)
	v_add_f64 v[54:55], v[2:3], v[18:19]
	v_add_f64 v[2:3], v[22:23], v[26:27]
	v_fma_f64 v[60:61], v[14:15], s[12:13], v[10:11]
	s_delay_alu instid0(VALU_DEP_4)
	v_add_f64 v[52:53], v[0:1], v[16:17]
	v_add_f64 v[0:1], v[12:13], -v[16:17]
	v_fma_f64 v[56:57], v[14:15], s[14:15], v[10:11]
	v_add_f64 v[10:11], v[22:23], -v[26:27]
	v_add_f64 v[12:13], v[30:31], v[34:35]
	v_add_f64 v[14:15], v[30:31], -v[34:35]
	s_waitcnt lgkmcnt(0)
	v_fma_f64 v[2:3], v[2:3], -0.5, v[6:7]
	v_add_f64 v[6:7], v[6:7], v[22:23]
	v_fma_f64 v[62:63], v[0:1], s[14:15], v[42:43]
	v_fma_f64 v[58:59], v[0:1], s[12:13], v[42:43]
	v_add_f64 v[0:1], v[20:21], v[24:25]
	s_delay_alu instid0(VALU_DEP_4) | instskip(NEXT) | instid1(VALU_DEP_2)
	v_add_f64 v[66:67], v[6:7], v[26:27]
	v_fma_f64 v[0:1], v[0:1], -0.5, v[4:5]
	v_add_f64 v[4:5], v[4:5], v[20:21]
	s_delay_alu instid0(VALU_DEP_2) | instskip(NEXT) | instid1(VALU_DEP_2)
	v_fma_f64 v[68:69], v[10:11], s[12:13], v[0:1]
	v_add_f64 v[64:65], v[4:5], v[24:25]
	v_add_f64 v[4:5], v[20:21], -v[24:25]
	v_fma_f64 v[72:73], v[10:11], s[14:15], v[0:1]
	v_add_f64 v[10:11], v[28:29], v[32:33]
	s_delay_alu instid0(VALU_DEP_3)
	v_fma_f64 v[70:71], v[4:5], s[14:15], v[2:3]
	v_fma_f64 v[74:75], v[4:5], s[12:13], v[2:3]
	ds_load_b128 v[0:3], v255 offset:3744
	ds_load_b128 v[4:7], v255 offset:5616
	s_waitcnt lgkmcnt(0)
	s_barrier
	buffer_gl0_inv
	v_fma_f64 v[10:11], v[10:11], -0.5, v[0:1]
	v_add_f64 v[0:1], v[0:1], v[28:29]
	v_fma_f64 v[12:13], v[12:13], -0.5, v[2:3]
	v_add_f64 v[2:3], v[2:3], v[30:31]
	s_delay_alu instid0(VALU_DEP_4) | instskip(NEXT) | instid1(VALU_DEP_4)
	v_fma_f64 v[84:85], v[14:15], s[12:13], v[10:11]
	v_add_f64 v[76:77], v[0:1], v[32:33]
	v_add_f64 v[0:1], v[28:29], -v[32:33]
	v_fma_f64 v[80:81], v[14:15], s[14:15], v[10:11]
	v_add_f64 v[10:11], v[38:39], -v[8:9]
	v_add_f64 v[78:79], v[2:3], v[34:35]
	v_add_f64 v[2:3], v[38:39], v[8:9]
	v_fma_f64 v[86:87], v[0:1], s[14:15], v[12:13]
	v_fma_f64 v[82:83], v[0:1], s[12:13], v[12:13]
	v_add_f64 v[0:1], v[36:37], v[40:41]
	s_delay_alu instid0(VALU_DEP_4) | instskip(SKIP_1) | instid1(VALU_DEP_3)
	v_fma_f64 v[2:3], v[2:3], -0.5, v[6:7]
	v_add_f64 v[6:7], v[6:7], v[38:39]
	v_fma_f64 v[0:1], v[0:1], -0.5, v[4:5]
	v_add_f64 v[4:5], v[4:5], v[36:37]
	s_delay_alu instid0(VALU_DEP_3) | instskip(NEXT) | instid1(VALU_DEP_3)
	v_add_f64 v[90:91], v[6:7], v[8:9]
	v_fma_f64 v[92:93], v[10:11], s[12:13], v[0:1]
	v_fma_f64 v[208:209], v[10:11], s[14:15], v[0:1]
	scratch_load_b32 v0, off, off offset:264 ; 4-byte Folded Reload
	v_add_f64 v[88:89], v[4:5], v[40:41]
	v_add_f64 v[4:5], v[36:37], -v[40:41]
	s_waitcnt vmcnt(0)
	ds_store_b128 v0, v[52:55]
	ds_store_b128 v0, v[60:63] offset:64
	ds_store_b128 v0, v[56:59] offset:128
	scratch_load_b32 v0, off, off offset:256 ; 4-byte Folded Reload
	v_fma_f64 v[94:95], v[4:5], s[14:15], v[2:3]
	v_fma_f64 v[210:211], v[4:5], s[12:13], v[2:3]
	s_waitcnt vmcnt(0)
	ds_store_b128 v0, v[64:67]
	ds_store_b128 v0, v[68:71] offset:64
	ds_store_b128 v0, v[72:75] offset:128
	scratch_load_b32 v0, off, off offset:248 ; 4-byte Folded Reload
	s_waitcnt vmcnt(0)
	ds_store_b128 v0, v[76:79]
	ds_store_b128 v0, v[84:87] offset:64
	ds_store_b128 v0, v[80:83] offset:128
	ds_store_b128 v213, v[88:91]
	ds_store_b128 v213, v[92:95] offset:64
	ds_store_b128 v213, v[208:211] offset:128
	s_waitcnt lgkmcnt(0)
	s_barrier
	buffer_gl0_inv
	s_and_saveexec_b32 s0, vcc_lo
	s_cbranch_execz .LBB0_7
; %bb.6:
	ds_load_b128 v[52:55], v255
	ds_load_b128 v[60:63], v255 offset:1728
	ds_load_b128 v[56:59], v255 offset:3456
	ds_load_b128 v[64:67], v255 offset:5184
	ds_load_b128 v[68:71], v255 offset:6912
	ds_load_b128 v[72:75], v255 offset:8640
	ds_load_b128 v[76:79], v255 offset:10368
	ds_load_b128 v[84:87], v255 offset:12096
	ds_load_b128 v[80:83], v255 offset:13824
	ds_load_b128 v[88:91], v255 offset:15552
	ds_load_b128 v[92:95], v255 offset:17280
	ds_load_b128 v[208:211], v255 offset:19008
	ds_load_b128 v[0:3], v255 offset:20736
	s_waitcnt lgkmcnt(0)
	scratch_store_b128 off, v[0:3], off     ; 16-byte Folded Spill
.LBB0_7:
	s_or_b32 exec_lo, exec_lo, s0
	s_waitcnt_vscnt null, 0x0
	s_barrier
	buffer_gl0_inv
	s_and_saveexec_b32 s33, vcc_lo
	s_cbranch_execz .LBB0_9
; %bb.8:
	v_mul_f64 v[0:1], v[134:135], v[78:79]
	v_mul_f64 v[4:5], v[130:131], v[82:83]
	;; [unrolled: 1-line block ×3, first 2 shown]
	scratch_load_b128 v[6:9], off, off      ; 16-byte Folded Reload
	s_mov_b32 s35, 0x3fddbe06
	s_mov_b32 s34, 0x4267c47c
	;; [unrolled: 1-line block ×30, first 2 shown]
	v_fma_f64 v[32:33], v[132:133], v[76:77], v[0:1]
	v_mul_f64 v[0:1], v[134:135], v[76:77]
	v_fma_f64 v[2:3], v[48:49], v[62:63], -v[2:3]
	s_delay_alu instid0(VALU_DEP_2) | instskip(SKIP_1) | instid1(VALU_DEP_1)
	v_fma_f64 v[14:15], v[132:133], v[78:79], -v[0:1]
	v_mul_f64 v[0:1], v[138:139], v[86:87]
	v_fma_f64 v[12:13], v[136:137], v[84:85], v[0:1]
	v_mul_f64 v[0:1], v[138:139], v[84:85]
	s_delay_alu instid0(VALU_DEP_1) | instskip(SKIP_1) | instid1(VALU_DEP_1)
	v_fma_f64 v[16:17], v[136:137], v[86:87], -v[0:1]
	v_mul_f64 v[0:1], v[126:127], v[74:75]
	v_fma_f64 v[18:19], v[124:125], v[72:73], v[0:1]
	v_mul_f64 v[0:1], v[126:127], v[72:73]
	s_delay_alu instid0(VALU_DEP_1) | instskip(SKIP_2) | instid1(VALU_DEP_2)
	v_fma_f64 v[24:25], v[124:125], v[74:75], -v[0:1]
	v_mul_f64 v[0:1], v[50:51], v[62:63]
	v_dual_mov_b32 v51, v17 :: v_dual_mov_b32 v50, v16
	v_fma_f64 v[0:1], v[48:49], v[60:61], v[0:1]
	v_fma_f64 v[60:61], v[128:129], v[80:81], v[4:5]
	v_mul_f64 v[4:5], v[130:131], v[80:81]
	v_dual_mov_b32 v49, v15 :: v_dual_mov_b32 v48, v14
	s_delay_alu instid0(VALU_DEP_1) | instskip(SKIP_1) | instid1(VALU_DEP_4)
	v_add_f64 v[10:11], v[48:49], -v[50:51]
	v_add_f64 v[234:235], v[48:49], v[50:51]
	v_fma_f64 v[62:63], v[128:129], v[82:83], -v[4:5]
	v_mul_f64 v[4:5], v[118:119], v[70:71]
	s_delay_alu instid0(VALU_DEP_4) | instskip(SKIP_1) | instid1(VALU_DEP_3)
	v_mul_f64 v[14:15], v[10:11], s[34:35]
	v_mul_f64 v[240:241], v[10:11], s[24:25]
	v_fma_f64 v[28:29], v[116:117], v[68:69], v[4:5]
	v_mul_f64 v[4:5], v[118:119], v[68:69]
	s_delay_alu instid0(VALU_DEP_1) | instskip(SKIP_1) | instid1(VALU_DEP_4)
	v_fma_f64 v[76:77], v[116:117], v[70:71], -v[4:5]
	v_mul_f64 v[4:5], v[122:123], v[90:91]
	v_dual_mov_b32 v71, v29 :: v_dual_mov_b32 v70, v28
	s_delay_alu instid0(VALU_DEP_2) | instskip(SKIP_1) | instid1(VALU_DEP_1)
	v_fma_f64 v[26:27], v[120:121], v[88:89], v[4:5]
	v_mul_f64 v[4:5], v[122:123], v[88:89]
	v_fma_f64 v[68:69], v[120:121], v[90:91], -v[4:5]
	v_mul_f64 v[4:5], v[110:111], v[66:67]
	s_delay_alu instid0(VALU_DEP_2) | instskip(NEXT) | instid1(VALU_DEP_2)
	v_add_f64 v[222:223], v[76:77], v[68:69]
	v_fma_f64 v[82:83], v[108:109], v[64:65], v[4:5]
	v_mul_f64 v[4:5], v[110:111], v[64:65]
	v_dual_mov_b32 v65, v25 :: v_dual_mov_b32 v64, v24
	s_delay_alu instid0(VALU_DEP_1) | instskip(NEXT) | instid1(VALU_DEP_3)
	v_add_f64 v[226:227], v[64:65], v[62:63]
	v_fma_f64 v[86:87], v[108:109], v[66:67], -v[4:5]
	v_mul_f64 v[4:5], v[114:115], v[94:95]
	v_dual_mov_b32 v67, v27 :: v_dual_mov_b32 v66, v26
	s_delay_alu instid0(VALU_DEP_1) | instskip(NEXT) | instid1(VALU_DEP_3)
	v_add_f64 v[224:225], v[70:71], v[66:67]
	v_fma_f64 v[72:73], v[112:113], v[92:93], v[4:5]
	v_mul_f64 v[4:5], v[114:115], v[92:93]
	s_delay_alu instid0(VALU_DEP_2) | instskip(NEXT) | instid1(VALU_DEP_2)
	v_add_f64 v[220:221], v[82:83], v[72:73]
	v_fma_f64 v[74:75], v[112:113], v[94:95], -v[4:5]
	v_mul_f64 v[4:5], v[102:103], v[58:59]
	v_add_f64 v[94:95], v[76:77], -v[68:69]
	s_delay_alu instid0(VALU_DEP_3) | instskip(NEXT) | instid1(VALU_DEP_3)
	v_add_f64 v[218:219], v[86:87], v[74:75]
	v_fma_f64 v[88:89], v[100:101], v[56:57], v[4:5]
	v_mul_f64 v[4:5], v[102:103], v[56:57]
	v_dual_mov_b32 v57, v13 :: v_dual_mov_b32 v56, v12
	v_mul_f64 v[108:109], v[94:95], s[34:35]
	s_delay_alu instid0(VALU_DEP_2) | instskip(NEXT) | instid1(VALU_DEP_4)
	v_add_f64 v[238:239], v[32:33], v[56:57]
	v_fma_f64 v[92:93], v[100:101], v[58:59], -v[4:5]
	v_mul_f64 v[4:5], v[106:107], v[210:211]
	v_dual_mov_b32 v59, v19 :: v_dual_mov_b32 v58, v18
	v_add_f64 v[100:101], v[82:83], -v[72:73]
	s_delay_alu instid0(VALU_DEP_3) | instskip(SKIP_1) | instid1(VALU_DEP_3)
	v_fma_f64 v[78:79], v[104:105], v[208:209], v[4:5]
	v_mul_f64 v[4:5], v[106:107], v[208:209]
	v_mul_f64 v[110:111], v[100:101], s[34:35]
	;; [unrolled: 1-line block ×3, first 2 shown]
	s_delay_alu instid0(VALU_DEP_4) | instskip(NEXT) | instid1(VALU_DEP_4)
	v_add_f64 v[212:213], v[88:89], v[78:79]
	v_fma_f64 v[80:81], v[104:105], v[210:211], -v[4:5]
	s_waitcnt vmcnt(0)
	v_mul_f64 v[4:5], v[98:99], v[8:9]
	v_add_f64 v[104:105], v[88:89], -v[78:79]
	s_delay_alu instid0(VALU_DEP_3) | instskip(NEXT) | instid1(VALU_DEP_3)
	v_add_f64 v[102:103], v[92:93], -v[80:81]
	v_fma_f64 v[90:91], v[96:97], v[6:7], v[4:5]
	v_mul_f64 v[4:5], v[98:99], v[6:7]
	v_add_f64 v[98:99], v[86:87], -v[74:75]
	v_add_f64 v[6:7], v[32:33], -v[56:57]
	v_mul_f64 v[16:17], v[104:105], s[34:35]
	v_add_f64 v[210:211], v[92:93], v[80:81]
	v_mul_f64 v[18:19], v[102:103], s[34:35]
	v_add_f64 v[20:21], v[0:1], -v[90:91]
	v_fma_f64 v[84:85], v[96:97], v[8:9], -v[4:5]
	v_add_f64 v[8:9], v[58:59], -v[60:61]
	v_add_f64 v[4:5], v[64:65], -v[62:63]
	;; [unrolled: 1-line block ×3, first 2 shown]
	v_mul_f64 v[112:113], v[98:99], s[34:35]
	v_mul_f64 v[12:13], v[6:7], s[34:35]
	v_add_f64 v[128:129], v[0:1], v[90:91]
	v_add_f64 v[0:1], v[52:53], v[0:1]
	s_clause 0x1
	scratch_store_b64 off, v[90:91], off offset:240
	scratch_store_b128 off, v[188:191], off offset:224
	v_add_f64 v[190:191], v[54:55], v[2:3]
	v_mul_f64 v[236:237], v[6:7], s[24:25]
	v_dual_mov_b32 v91, v75 :: v_dual_mov_b32 v90, v74
	v_dual_mov_b32 v75, v67 :: v_dual_mov_b32 v74, v66
	;; [unrolled: 1-line block ×4, first 2 shown]
	v_mul_f64 v[244:245], v[98:99], s[18:19]
	v_mul_f64 v[215:216], v[102:103], s[18:19]
	;; [unrolled: 1-line block ×8, first 2 shown]
	s_mov_b32 s35, 0xbfddbe06
	v_mul_f64 v[30:31], v[20:21], s[20:21]
	v_mul_f64 v[34:35], v[20:21], s[28:29]
	;; [unrolled: 1-line block ×4, first 2 shown]
	v_add_f64 v[38:39], v[2:3], v[84:85]
	scratch_store_b64 off, v[0:1], off offset:248 ; 8-byte Folded Spill
	v_mul_f64 v[230:231], v[4:5], s[20:21]
	scratch_store_b64 off, v[84:85], off    ; 8-byte Folded Spill
	v_mul_f64 v[250:251], v[8:9], s[24:25]
	v_mul_f64 v[252:253], v[4:5], s[24:25]
	v_fma_f64 v[40:41], v[38:39], s[14:15], v[22:23]
	v_fma_f64 v[22:23], v[38:39], s[14:15], -v[22:23]
	v_fma_f64 v[42:43], v[38:39], s[8:9], v[28:29]
	v_fma_f64 v[28:29], v[38:39], s[8:9], -v[28:29]
	;; [unrolled: 2-line block ×6, first 2 shown]
	v_add_f64 v[38:39], v[2:3], -v[84:85]
	v_dual_mov_b32 v85, v73 :: v_dual_mov_b32 v84, v72
	v_dual_mov_b32 v72, v76 :: v_dual_mov_b32 v73, v77
	v_add_f64 v[0:1], v[54:55], v[40:41]
	v_add_f64 v[22:23], v[54:55], v[22:23]
	;; [unrolled: 1-line block ×9, first 2 shown]
	v_mul_f64 v[118:119], v[38:39], s[18:19]
	v_mul_f64 v[120:121], v[38:39], s[16:17]
	v_fma_f64 v[20:21], v[210:211], s[22:23], v[16:17]
	v_mul_f64 v[122:123], v[38:39], s[20:21]
	v_mul_f64 v[124:125], v[38:39], s[28:29]
	;; [unrolled: 1-line block ×4, first 2 shown]
	v_fma_f64 v[16:17], v[210:211], s[22:23], -v[16:17]
	s_mov_b32 s35, 0x3fcea1e5
	s_mov_b32 s34, s18
	v_fma_f64 v[130:131], v[128:129], s[14:15], -v[118:119]
	v_fma_f64 v[118:119], v[128:129], s[14:15], v[118:119]
	v_fma_f64 v[132:133], v[128:129], s[8:9], -v[120:121]
	v_add_f64 v[0:1], v[20:21], v[0:1]
	v_fma_f64 v[20:21], v[212:213], s[22:23], -v[18:19]
	v_fma_f64 v[120:121], v[128:129], s[8:9], v[120:121]
	v_fma_f64 v[134:135], v[128:129], s[0:1], -v[122:123]
	v_fma_f64 v[122:123], v[128:129], s[0:1], v[122:123]
	;; [unrolled: 2-line block ×4, first 2 shown]
	v_fma_f64 v[172:173], v[128:129], s[22:23], v[38:39]
	v_fma_f64 v[38:39], v[128:129], s[22:23], -v[38:39]
	v_add_f64 v[16:17], v[16:17], v[22:23]
	v_fma_f64 v[18:19], v[212:213], s[22:23], v[18:19]
	v_fma_f64 v[22:23], v[238:239], s[10:11], v[240:241]
	v_dual_mov_b32 v129, v81 :: v_dual_mov_b32 v128, v80
	v_dual_mov_b32 v81, v69 :: v_dual_mov_b32 v80, v68
	;; [unrolled: 1-line block ×4, first 2 shown]
	v_add_f64 v[2:3], v[52:53], v[130:131]
	v_add_f64 v[40:41], v[52:53], v[118:119]
	;; [unrolled: 1-line block ×15, first 2 shown]
	v_dual_mov_b32 v127, v79 :: v_dual_mov_b32 v126, v78
	v_dual_mov_b32 v76, v180 :: v_dual_mov_b32 v77, v181
	;; [unrolled: 1-line block ×3, first 2 shown]
	v_mul_f64 v[182:183], v[96:97], s[36:37]
	v_mul_f64 v[180:181], v[4:5], s[30:31]
	v_dual_mov_b32 v39, v33 :: v_dual_mov_b32 v38, v32
	v_add_f64 v[2:3], v[20:21], v[2:3]
	v_mul_f64 v[20:21], v[100:101], s[16:17]
	v_add_f64 v[18:19], v[18:19], v[40:41]
	v_mul_f64 v[40:41], v[102:103], s[24:25]
	scratch_store_b64 off, v[30:31], off offset:256 ; 8-byte Folded Spill
	v_fma_f64 v[30:31], v[218:219], s[8:9], v[20:21]
	v_fma_f64 v[20:21], v[218:219], s[8:9], -v[20:21]
	s_delay_alu instid0(VALU_DEP_2) | instskip(SKIP_1) | instid1(VALU_DEP_3)
	v_add_f64 v[0:1], v[30:31], v[0:1]
	v_mul_f64 v[30:31], v[98:99], s[16:17]
	v_add_f64 v[16:17], v[20:21], v[16:17]
	s_delay_alu instid0(VALU_DEP_2) | instskip(SKIP_4) | instid1(SALU_CYCLE_1)
	v_fma_f64 v[52:53], v[220:221], s[8:9], -v[30:31]
	v_fma_f64 v[20:21], v[220:221], s[8:9], v[30:31]
	v_mul_f64 v[30:31], v[104:105], s[24:25]
	s_mov_b32 s25, 0x3fedeba7
	s_mov_b32 s24, s20
	v_mul_f64 v[170:171], v[98:99], s[24:25]
	s_delay_alu instid0(VALU_DEP_4) | instskip(SKIP_2) | instid1(VALU_DEP_2)
	v_add_f64 v[2:3], v[52:53], v[2:3]
	v_mul_f64 v[52:53], v[96:97], s[26:27]
	v_add_f64 v[18:19], v[20:21], v[18:19]
	v_fma_f64 v[54:55], v[222:223], s[12:13], v[52:53]
	v_fma_f64 v[20:21], v[222:223], s[12:13], -v[52:53]
	s_delay_alu instid0(VALU_DEP_2) | instskip(SKIP_1) | instid1(VALU_DEP_3)
	v_add_f64 v[0:1], v[54:55], v[0:1]
	v_mul_f64 v[54:55], v[94:95], s[26:27]
	v_add_f64 v[16:17], v[20:21], v[16:17]
	s_delay_alu instid0(VALU_DEP_2) | instskip(SKIP_1) | instid1(VALU_DEP_2)
	v_fma_f64 v[116:117], v[224:225], s[12:13], -v[54:55]
	v_fma_f64 v[20:21], v[224:225], s[12:13], v[54:55]
	v_add_f64 v[2:3], v[116:117], v[2:3]
	v_mul_f64 v[116:117], v[8:9], s[20:21]
	s_delay_alu instid0(VALU_DEP_3) | instskip(NEXT) | instid1(VALU_DEP_2)
	v_add_f64 v[18:19], v[20:21], v[18:19]
	v_fma_f64 v[228:229], v[226:227], s[0:1], v[116:117]
	v_fma_f64 v[20:21], v[226:227], s[0:1], -v[116:117]
	s_delay_alu instid0(VALU_DEP_2) | instskip(SKIP_1) | instid1(VALU_DEP_3)
	v_add_f64 v[0:1], v[228:229], v[0:1]
	v_add_f64 v[228:229], v[58:59], v[60:61]
	;; [unrolled: 1-line block ×3, first 2 shown]
	v_dual_mov_b32 v61, v51 :: v_dual_mov_b32 v60, v50
	v_dual_mov_b32 v51, v49 :: v_dual_mov_b32 v50, v48
	;; [unrolled: 1-line block ×3, first 2 shown]
	v_fma_f64 v[20:21], v[228:229], s[0:1], v[230:231]
	v_fma_f64 v[232:233], v[228:229], s[0:1], -v[230:231]
	v_mul_f64 v[230:231], v[6:7], s[20:21]
	s_delay_alu instid0(VALU_DEP_3) | instskip(SKIP_1) | instid1(VALU_DEP_4)
	v_add_f64 v[20:21], v[20:21], v[18:19]
	v_fma_f64 v[18:19], v[234:235], s[10:11], -v[236:237]
	v_add_f64 v[232:233], v[232:233], v[2:3]
	v_fma_f64 v[2:3], v[234:235], s[10:11], v[236:237]
	v_mul_f64 v[236:237], v[104:105], s[20:21]
	s_delay_alu instid0(VALU_DEP_4)
	v_add_f64 v[18:19], v[18:19], v[16:17]
	v_add_f64 v[16:17], v[22:23], v[20:21]
	v_fma_f64 v[20:21], v[210:211], s[10:11], v[30:31]
	v_fma_f64 v[22:23], v[212:213], s[10:11], -v[40:41]
	v_fma_f64 v[30:31], v[210:211], s[10:11], -v[30:31]
	v_add_f64 v[58:59], v[2:3], v[0:1]
	v_fma_f64 v[0:1], v[238:239], s[10:11], -v[240:241]
	v_mul_f64 v[240:241], v[102:103], s[20:21]
	v_add_f64 v[20:21], v[20:21], v[42:43]
	v_mul_f64 v[42:43], v[100:101], s[30:31]
	v_add_f64 v[22:23], v[22:23], v[118:119]
	v_add_f64 v[28:29], v[30:31], v[28:29]
	v_fma_f64 v[30:31], v[212:213], s[10:11], v[40:41]
	v_add_f64 v[56:57], v[0:1], v[232:233]
	v_mul_f64 v[232:233], v[10:11], s[20:21]
	v_dual_mov_b32 v0, v204 :: v_dual_mov_b32 v1, v205
	v_dual_mov_b32 v2, v206 :: v_dual_mov_b32 v3, v207
	;; [unrolled: 1-line block ×10, first 2 shown]
	v_mul_f64 v[184:185], v[94:95], s[36:37]
	v_mul_f64 v[186:187], v[8:9], s[30:31]
	v_fma_f64 v[52:53], v[218:219], s[12:13], v[42:43]
	v_fma_f64 v[40:41], v[218:219], s[12:13], -v[42:43]
	v_mul_f64 v[42:43], v[102:103], s[36:37]
	v_add_f64 v[30:31], v[30:31], v[120:121]
	v_mul_f64 v[120:121], v[8:9], s[34:35]
	v_add_f64 v[20:21], v[52:53], v[20:21]
	;; [unrolled: 2-line block ×3, first 2 shown]
	s_delay_alu instid0(VALU_DEP_2) | instskip(SKIP_1) | instid1(VALU_DEP_2)
	v_fma_f64 v[54:55], v[220:221], s[12:13], -v[52:53]
	v_fma_f64 v[40:41], v[220:221], s[12:13], v[52:53]
	v_add_f64 v[22:23], v[54:55], v[22:23]
	v_mul_f64 v[54:55], v[96:97], s[34:35]
	s_delay_alu instid0(VALU_DEP_3) | instskip(NEXT) | instid1(VALU_DEP_2)
	v_add_f64 v[30:31], v[40:41], v[30:31]
	v_fma_f64 v[116:117], v[222:223], s[14:15], v[54:55]
	v_fma_f64 v[40:41], v[222:223], s[14:15], -v[54:55]
	v_fma_f64 v[54:55], v[218:219], s[14:15], -v[242:243]
	s_delay_alu instid0(VALU_DEP_3) | instskip(SKIP_1) | instid1(VALU_DEP_4)
	v_add_f64 v[20:21], v[116:117], v[20:21]
	v_mul_f64 v[116:117], v[94:95], s[34:35]
	v_add_f64 v[28:29], v[40:41], v[28:29]
	s_delay_alu instid0(VALU_DEP_2) | instskip(SKIP_1) | instid1(VALU_DEP_2)
	v_fma_f64 v[118:119], v[224:225], s[14:15], -v[116:117]
	v_fma_f64 v[40:41], v[224:225], s[14:15], v[116:117]
	v_add_f64 v[22:23], v[118:119], v[22:23]
	v_fma_f64 v[118:119], v[226:227], s[22:23], v[24:25]
	s_delay_alu instid0(VALU_DEP_3) | instskip(SKIP_2) | instid1(VALU_DEP_4)
	v_add_f64 v[30:31], v[40:41], v[30:31]
	v_fma_f64 v[24:25], v[226:227], s[22:23], -v[24:25]
	v_mul_f64 v[40:41], v[104:105], s[36:37]
	v_add_f64 v[20:21], v[118:119], v[20:21]
	v_fma_f64 v[118:119], v[228:229], s[22:23], -v[26:27]
	v_fma_f64 v[26:27], v[228:229], s[22:23], v[26:27]
	v_add_f64 v[24:25], v[24:25], v[28:29]
	s_delay_alu instid0(VALU_DEP_3) | instskip(NEXT) | instid1(VALU_DEP_3)
	v_add_f64 v[118:119], v[118:119], v[22:23]
	v_add_f64 v[28:29], v[26:27], v[30:31]
	v_fma_f64 v[26:27], v[234:235], s[0:1], -v[230:231]
	v_fma_f64 v[30:31], v[238:239], s[0:1], v[232:233]
	v_fma_f64 v[22:23], v[234:235], s[0:1], v[230:231]
	v_mul_f64 v[230:231], v[6:7], s[26:27]
	s_delay_alu instid0(VALU_DEP_4) | instskip(NEXT) | instid1(VALU_DEP_4)
	v_add_f64 v[26:27], v[26:27], v[24:25]
	v_add_f64 v[24:25], v[30:31], v[28:29]
	v_fma_f64 v[28:29], v[210:211], s[8:9], v[40:41]
	v_fma_f64 v[30:31], v[212:213], s[8:9], -v[42:43]
	v_add_f64 v[22:23], v[22:23], v[20:21]
	v_fma_f64 v[20:21], v[238:239], s[0:1], -v[232:233]
	v_mul_f64 v[232:233], v[10:11], s[26:27]
	v_add_f64 v[28:29], v[28:29], v[44:45]
	v_fma_f64 v[44:45], v[218:219], s[22:23], v[110:111]
	v_add_f64 v[30:31], v[30:31], v[130:131]
	v_add_f64 v[20:21], v[20:21], v[118:119]
	v_mul_f64 v[118:119], v[94:95], s[28:29]
	v_mul_f64 v[130:131], v[4:5], s[34:35]
	;; [unrolled: 1-line block ×3, first 2 shown]
	v_add_f64 v[28:29], v[44:45], v[28:29]
	v_fma_f64 v[44:45], v[220:221], s[22:23], -v[112:113]
	s_delay_alu instid0(VALU_DEP_1) | instskip(SKIP_1) | instid1(VALU_DEP_1)
	v_add_f64 v[30:31], v[44:45], v[30:31]
	v_mul_f64 v[44:45], v[96:97], s[28:29]
	v_fma_f64 v[52:53], v[222:223], s[10:11], v[44:45]
	s_delay_alu instid0(VALU_DEP_1) | instskip(SKIP_1) | instid1(VALU_DEP_1)
	v_add_f64 v[28:29], v[52:53], v[28:29]
	v_fma_f64 v[52:53], v[224:225], s[10:11], -v[118:119]
	v_add_f64 v[30:31], v[52:53], v[30:31]
	v_fma_f64 v[52:53], v[226:227], s[14:15], v[120:121]
	s_delay_alu instid0(VALU_DEP_1) | instskip(SKIP_1) | instid1(VALU_DEP_1)
	v_add_f64 v[28:29], v[52:53], v[28:29]
	v_fma_f64 v[52:53], v[228:229], s[14:15], -v[130:131]
	v_add_f64 v[52:53], v[52:53], v[30:31]
	;; [unrolled: 5-line block ×3, first 2 shown]
	v_fma_f64 v[52:53], v[210:211], s[0:1], -v[236:237]
	s_delay_alu instid0(VALU_DEP_1) | instskip(SKIP_1) | instid1(VALU_DEP_2)
	v_add_f64 v[36:37], v[52:53], v[36:37]
	v_fma_f64 v[52:53], v[212:213], s[0:1], v[240:241]
	v_add_f64 v[36:37], v[54:55], v[36:37]
	s_delay_alu instid0(VALU_DEP_2) | instskip(SKIP_1) | instid1(VALU_DEP_1)
	v_add_f64 v[52:53], v[52:53], v[114:115]
	v_fma_f64 v[54:55], v[220:221], s[14:15], v[244:245]
	v_add_f64 v[52:53], v[54:55], v[52:53]
	v_fma_f64 v[54:55], v[222:223], s[8:9], -v[182:183]
	s_delay_alu instid0(VALU_DEP_1) | instskip(SKIP_1) | instid1(VALU_DEP_1)
	v_add_f64 v[36:37], v[54:55], v[36:37]
	v_fma_f64 v[54:55], v[224:225], s[8:9], v[184:185]
	v_add_f64 v[52:53], v[54:55], v[52:53]
	v_fma_f64 v[54:55], v[226:227], s[10:11], -v[250:251]
	s_delay_alu instid0(VALU_DEP_1) | instskip(SKIP_1) | instid1(VALU_DEP_1)
	v_add_f64 v[36:37], v[54:55], v[36:37]
	v_fma_f64 v[54:55], v[228:229], s[10:11], v[252:253]
	v_add_f64 v[52:53], v[54:55], v[52:53]
	v_fma_f64 v[54:55], v[234:235], s[22:23], -v[12:13]
	v_fma_f64 v[12:13], v[234:235], s[22:23], v[12:13]
	s_delay_alu instid0(VALU_DEP_2) | instskip(SKIP_1) | instid1(VALU_DEP_1)
	v_add_f64 v[54:55], v[54:55], v[36:37]
	v_fma_f64 v[36:37], v[238:239], s[22:23], v[14:15]
	v_add_f64 v[52:53], v[36:37], v[52:53]
	v_mul_f64 v[36:37], v[104:105], s[18:19]
	s_delay_alu instid0(VALU_DEP_1) | instskip(NEXT) | instid1(VALU_DEP_1)
	v_fma_f64 v[114:115], v[210:211], s[14:15], -v[36:37]
	v_add_f64 v[34:35], v[114:115], v[34:35]
	v_fma_f64 v[114:115], v[212:213], s[14:15], v[215:216]
	s_delay_alu instid0(VALU_DEP_1) | instskip(SKIP_1) | instid1(VALU_DEP_1)
	v_add_f64 v[114:115], v[114:115], v[124:125]
	v_mul_f64 v[124:125], v[100:101], s[24:25]
	v_fma_f64 v[116:117], v[218:219], s[0:1], -v[124:125]
	s_delay_alu instid0(VALU_DEP_1) | instskip(SKIP_1) | instid1(VALU_DEP_1)
	v_add_f64 v[34:35], v[116:117], v[34:35]
	v_fma_f64 v[116:117], v[220:221], s[0:1], v[170:171]
	v_add_f64 v[114:115], v[116:117], v[114:115]
	v_fma_f64 v[116:117], v[222:223], s[22:23], -v[106:107]
	s_delay_alu instid0(VALU_DEP_1) | instskip(SKIP_1) | instid1(VALU_DEP_1)
	v_add_f64 v[34:35], v[116:117], v[34:35]
	v_fma_f64 v[116:117], v[224:225], s[22:23], v[108:109]
	v_add_f64 v[114:115], v[116:117], v[114:115]
	;; [unrolled: 5-line block ×3, first 2 shown]
	v_fma_f64 v[116:117], v[234:235], s[8:9], -v[188:189]
	s_delay_alu instid0(VALU_DEP_1) | instskip(SKIP_1) | instid1(VALU_DEP_1)
	v_add_f64 v[116:117], v[116:117], v[34:35]
	v_mul_f64 v[34:35], v[10:11], s[16:17]
	v_fma_f64 v[32:33], v[238:239], s[8:9], v[34:35]
	v_fma_f64 v[34:35], v[238:239], s[8:9], -v[34:35]
	s_delay_alu instid0(VALU_DEP_2) | instskip(SKIP_3) | instid1(VALU_DEP_3)
	v_add_f64 v[114:115], v[32:33], v[114:115]
	v_fma_f64 v[32:33], v[210:211], s[8:9], -v[40:41]
	v_fma_f64 v[40:41], v[212:213], s[8:9], v[42:43]
	v_fma_f64 v[42:43], v[218:219], s[22:23], -v[110:111]
	v_add_f64 v[32:33], v[32:33], v[132:133]
	s_delay_alu instid0(VALU_DEP_3) | instskip(NEXT) | instid1(VALU_DEP_2)
	v_add_f64 v[40:41], v[40:41], v[122:123]
	v_add_f64 v[32:33], v[42:43], v[32:33]
	v_fma_f64 v[42:43], v[220:221], s[22:23], v[112:113]
	s_delay_alu instid0(VALU_DEP_1) | instskip(SKIP_2) | instid1(VALU_DEP_2)
	v_add_f64 v[40:41], v[42:43], v[40:41]
	v_fma_f64 v[42:43], v[222:223], s[10:11], -v[44:45]
	v_fma_f64 v[44:45], v[238:239], s[12:13], v[232:233]
	v_add_f64 v[32:33], v[42:43], v[32:33]
	v_fma_f64 v[42:43], v[224:225], s[10:11], v[118:119]
	s_delay_alu instid0(VALU_DEP_1) | instskip(SKIP_1) | instid1(VALU_DEP_1)
	v_add_f64 v[40:41], v[42:43], v[40:41]
	v_fma_f64 v[42:43], v[226:227], s[14:15], -v[120:121]
	v_add_f64 v[32:33], v[42:43], v[32:33]
	v_fma_f64 v[42:43], v[228:229], s[14:15], v[130:131]
	s_delay_alu instid0(VALU_DEP_1) | instskip(SKIP_1) | instid1(VALU_DEP_2)
	v_add_f64 v[40:41], v[42:43], v[40:41]
	v_fma_f64 v[42:43], v[234:235], s[12:13], -v[230:231]
	v_add_f64 v[110:111], v[44:45], v[40:41]
	s_delay_alu instid0(VALU_DEP_2) | instskip(SKIP_4) | instid1(VALU_DEP_4)
	v_add_f64 v[112:113], v[42:43], v[32:33]
	v_fma_f64 v[32:33], v[210:211], s[14:15], v[36:37]
	v_fma_f64 v[36:37], v[212:213], s[14:15], -v[215:216]
	v_fma_f64 v[40:41], v[218:219], s[0:1], v[124:125]
	v_mul_f64 v[42:43], v[100:101], s[28:29]
	v_add_f64 v[32:33], v[32:33], v[46:47]
	s_delay_alu instid0(VALU_DEP_4) | instskip(NEXT) | instid1(VALU_DEP_3)
	v_add_f64 v[36:37], v[36:37], v[134:135]
	v_fma_f64 v[44:45], v[218:219], s[10:11], -v[42:43]
	v_fma_f64 v[42:43], v[218:219], s[10:11], v[42:43]
	s_delay_alu instid0(VALU_DEP_4) | instskip(SKIP_1) | instid1(VALU_DEP_1)
	v_add_f64 v[32:33], v[40:41], v[32:33]
	v_fma_f64 v[40:41], v[220:221], s[0:1], -v[170:171]
	v_add_f64 v[36:37], v[40:41], v[36:37]
	v_fma_f64 v[40:41], v[222:223], s[22:23], v[106:107]
	s_delay_alu instid0(VALU_DEP_1) | instskip(SKIP_1) | instid1(VALU_DEP_1)
	v_add_f64 v[32:33], v[40:41], v[32:33]
	v_fma_f64 v[40:41], v[224:225], s[22:23], -v[108:109]
	v_add_f64 v[36:37], v[40:41], v[36:37]
	v_fma_f64 v[40:41], v[226:227], s[12:13], v[186:187]
	s_delay_alu instid0(VALU_DEP_1) | instskip(SKIP_1) | instid1(VALU_DEP_1)
	v_add_f64 v[32:33], v[40:41], v[32:33]
	v_fma_f64 v[40:41], v[228:229], s[12:13], -v[180:181]
	v_add_f64 v[36:37], v[40:41], v[36:37]
	v_fma_f64 v[40:41], v[234:235], s[8:9], v[188:189]
	s_delay_alu instid0(VALU_DEP_2) | instskip(NEXT) | instid1(VALU_DEP_2)
	v_add_f64 v[106:107], v[34:35], v[36:37]
	v_add_f64 v[108:109], v[40:41], v[32:33]
	v_fma_f64 v[32:33], v[210:211], s[0:1], v[236:237]
	v_fma_f64 v[34:35], v[212:213], s[0:1], -v[240:241]
	v_fma_f64 v[36:37], v[218:219], s[14:15], v[242:243]
	s_delay_alu instid0(VALU_DEP_3) | instskip(NEXT) | instid1(VALU_DEP_3)
	v_add_f64 v[32:33], v[32:33], v[136:137]
	v_add_f64 v[34:35], v[34:35], v[138:139]
	s_delay_alu instid0(VALU_DEP_2) | instskip(SKIP_1) | instid1(VALU_DEP_1)
	v_add_f64 v[32:33], v[36:37], v[32:33]
	v_fma_f64 v[36:37], v[220:221], s[14:15], -v[244:245]
	v_add_f64 v[34:35], v[36:37], v[34:35]
	v_fma_f64 v[36:37], v[222:223], s[8:9], v[182:183]
	v_dual_mov_b32 v183, v79 :: v_dual_mov_b32 v182, v78
	v_dual_mov_b32 v181, v77 :: v_dual_mov_b32 v180, v76
	s_delay_alu instid0(VALU_DEP_3)
	v_add_f64 v[32:33], v[36:37], v[32:33]
	v_fma_f64 v[36:37], v[224:225], s[8:9], -v[184:185]
	v_dual_mov_b32 v184, v192 :: v_dual_mov_b32 v185, v193
	v_dual_mov_b32 v186, v194 :: v_dual_mov_b32 v187, v195
	v_dual_mov_b32 v192, v196 :: v_dual_mov_b32 v193, v197
	v_dual_mov_b32 v194, v198 :: v_dual_mov_b32 v195, v199
	v_dual_mov_b32 v196, v200 :: v_dual_mov_b32 v197, v201
	v_dual_mov_b32 v198, v202 :: v_dual_mov_b32 v199, v203
	v_dual_mov_b32 v200, v204 :: v_dual_mov_b32 v201, v205
	v_dual_mov_b32 v202, v206 :: v_dual_mov_b32 v203, v207
	v_dual_mov_b32 v207, v3 :: v_dual_mov_b32 v206, v2
	v_dual_mov_b32 v205, v1 :: v_dual_mov_b32 v204, v0
	scratch_load_b64 v[0:1], off, off offset:248 ; 8-byte Folded Reload
	v_add_f64 v[34:35], v[36:37], v[34:35]
	v_fma_f64 v[36:37], v[226:227], s[10:11], v[250:251]
	s_delay_alu instid0(VALU_DEP_1) | instskip(SKIP_1) | instid1(VALU_DEP_1)
	v_add_f64 v[32:33], v[36:37], v[32:33]
	v_fma_f64 v[36:37], v[228:229], s[10:11], -v[252:253]
	v_add_f64 v[34:35], v[36:37], v[34:35]
	v_fma_f64 v[36:37], v[238:239], s[22:23], -v[14:15]
	s_delay_alu instid0(VALU_DEP_4) | instskip(SKIP_1) | instid1(VALU_DEP_3)
	v_add_f64 v[14:15], v[12:13], v[32:33]
	v_mul_f64 v[32:33], v[104:105], s[30:31]
	v_add_f64 v[12:13], v[36:37], v[34:35]
	v_mul_f64 v[36:37], v[102:103], s[30:31]
	s_delay_alu instid0(VALU_DEP_3) | instskip(SKIP_1) | instid1(VALU_DEP_3)
	v_fma_f64 v[34:35], v[210:211], s[12:13], -v[32:33]
	v_fma_f64 v[32:33], v[210:211], s[12:13], v[32:33]
	v_fma_f64 v[40:41], v[212:213], s[12:13], v[36:37]
	s_delay_alu instid0(VALU_DEP_3) | instskip(SKIP_1) | instid1(VALU_DEP_3)
	v_add_f64 v[34:35], v[34:35], v[208:209]
	v_fma_f64 v[36:37], v[212:213], s[12:13], -v[36:37]
	v_add_f64 v[40:41], v[40:41], v[172:173]
	s_delay_alu instid0(VALU_DEP_3) | instskip(SKIP_3) | instid1(VALU_DEP_3)
	v_add_f64 v[34:35], v[44:45], v[34:35]
	v_mul_f64 v[44:45], v[98:99], s[28:29]
	v_mul_f64 v[98:99], v[10:11], s[18:19]
	v_add_f64 v[36:37], v[36:37], v[174:175]
	v_fma_f64 v[46:47], v[220:221], s[10:11], v[44:45]
	v_fma_f64 v[44:45], v[220:221], s[10:11], -v[44:45]
	s_delay_alu instid0(VALU_DEP_2) | instskip(SKIP_1) | instid1(VALU_DEP_3)
	v_add_f64 v[40:41], v[46:47], v[40:41]
	v_mul_f64 v[46:47], v[96:97], s[20:21]
	v_add_f64 v[36:37], v[44:45], v[36:37]
	s_waitcnt vmcnt(0)
	v_add_f64 v[10:11], v[0:1], v[88:89]
	scratch_load_b64 v[0:1], off, off       ; 8-byte Folded Reload
	v_fma_f64 v[96:97], v[222:223], s[0:1], -v[46:47]
	v_add_f64 v[10:11], v[10:11], v[82:83]
	s_delay_alu instid0(VALU_DEP_2) | instskip(SKIP_1) | instid1(VALU_DEP_3)
	v_add_f64 v[34:35], v[96:97], v[34:35]
	v_fma_f64 v[96:97], v[224:225], s[0:1], v[94:95]
	v_add_f64 v[10:11], v[10:11], v[70:71]
	s_delay_alu instid0(VALU_DEP_2) | instskip(SKIP_1) | instid1(VALU_DEP_3)
	v_add_f64 v[40:41], v[96:97], v[40:41]
	v_mul_f64 v[96:97], v[8:9], s[16:17]
	v_add_f64 v[10:11], v[10:11], v[62:63]
	s_delay_alu instid0(VALU_DEP_2) | instskip(NEXT) | instid1(VALU_DEP_2)
	v_fma_f64 v[8:9], v[226:227], s[8:9], -v[96:97]
	v_add_f64 v[10:11], v[10:11], v[38:39]
	v_fma_f64 v[38:39], v[222:223], s[0:1], v[46:47]
	v_fma_f64 v[46:47], v[224:225], s[0:1], -v[94:95]
	s_delay_alu instid0(VALU_DEP_4) | instskip(SKIP_2) | instid1(VALU_DEP_4)
	v_add_f64 v[8:9], v[8:9], v[34:35]
	v_mul_f64 v[34:35], v[4:5], s[16:17]
	v_add_f64 v[10:11], v[10:11], v[48:49]
	v_add_f64 v[36:37], v[46:47], v[36:37]
	s_delay_alu instid0(VALU_DEP_3) | instskip(SKIP_1) | instid1(VALU_DEP_4)
	v_fma_f64 v[4:5], v[228:229], s[8:9], v[34:35]
	v_fma_f64 v[34:35], v[228:229], s[8:9], -v[34:35]
	v_add_f64 v[10:11], v[10:11], v[64:65]
	s_delay_alu instid0(VALU_DEP_3) | instskip(SKIP_1) | instid1(VALU_DEP_4)
	v_add_f64 v[4:5], v[4:5], v[40:41]
	v_mul_f64 v[40:41], v[6:7], s[18:19]
	v_add_f64 v[34:35], v[34:35], v[36:37]
	s_delay_alu instid0(VALU_DEP_4) | instskip(NEXT) | instid1(VALU_DEP_3)
	v_add_f64 v[10:11], v[10:11], v[74:75]
	v_fma_f64 v[6:7], v[234:235], s[14:15], -v[40:41]
	s_delay_alu instid0(VALU_DEP_2) | instskip(NEXT) | instid1(VALU_DEP_2)
	v_add_f64 v[10:11], v[10:11], v[84:85]
	v_add_f64 v[6:7], v[6:7], v[8:9]
	v_fma_f64 v[8:9], v[238:239], s[14:15], v[98:99]
	s_delay_alu instid0(VALU_DEP_3) | instskip(NEXT) | instid1(VALU_DEP_2)
	v_add_f64 v[48:49], v[10:11], v[126:127]
	v_add_f64 v[4:5], v[8:9], v[4:5]
	;; [unrolled: 1-line block ×3, first 2 shown]
	scratch_load_b128 v[188:191], off, off offset:224 ; 16-byte Folded Reload
	v_add_f64 v[8:9], v[8:9], v[86:87]
	s_delay_alu instid0(VALU_DEP_1) | instskip(NEXT) | instid1(VALU_DEP_1)
	v_add_f64 v[8:9], v[8:9], v[72:73]
	v_add_f64 v[8:9], v[8:9], v[66:67]
	s_delay_alu instid0(VALU_DEP_1) | instskip(NEXT) | instid1(VALU_DEP_1)
	v_add_f64 v[8:9], v[8:9], v[50:51]
	;; [unrolled: 3-line block ×4, first 2 shown]
	v_add_f64 v[8:9], v[8:9], v[128:129]
	s_waitcnt vmcnt(1)
	s_delay_alu instid0(VALU_DEP_1)
	v_add_f64 v[10:11], v[8:9], v[0:1]
	scratch_load_b64 v[0:1], off, off offset:240 ; 8-byte Folded Reload
	s_waitcnt vmcnt(0)
	v_add_f64 v[8:9], v[48:49], v[0:1]
	scratch_load_b64 v[0:1], off, off offset:256 ; 8-byte Folded Reload
	s_waitcnt vmcnt(0)
	v_add_f64 v[32:33], v[32:33], v[0:1]
	s_delay_alu instid0(VALU_DEP_1) | instskip(SKIP_1) | instid1(VALU_DEP_2)
	v_add_f64 v[32:33], v[42:43], v[32:33]
	v_fma_f64 v[42:43], v[226:227], s[8:9], v[96:97]
	v_add_f64 v[32:33], v[38:39], v[32:33]
	v_fma_f64 v[38:39], v[234:235], s[14:15], v[40:41]
	v_fma_f64 v[40:41], v[238:239], s[14:15], -v[98:99]
	s_delay_alu instid0(VALU_DEP_3) | instskip(NEXT) | instid1(VALU_DEP_2)
	v_add_f64 v[32:33], v[42:43], v[32:33]
	v_add_f64 v[48:49], v[40:41], v[34:35]
	s_delay_alu instid0(VALU_DEP_2)
	v_add_f64 v[50:51], v[38:39], v[32:33]
	s_clause 0x1
	scratch_load_b32 v32, off, off offset:220
	scratch_load_b32 v33, off, off offset:216
	s_waitcnt vmcnt(1)
	v_mul_u32_u24_e32 v32, 0x9c, v32
	s_waitcnt vmcnt(0)
	s_delay_alu instid0(VALU_DEP_1)
	v_add_lshl_u32 v32, v32, v33, 4
	ds_store_b128 v32, v[52:55] offset:384
	ds_store_b128 v32, v[114:117] offset:576
	;; [unrolled: 1-line block ×11, first 2 shown]
	ds_store_b128 v32, v[8:11]
	ds_store_b128 v32, v[48:51] offset:2304
.LBB0_9:
	s_or_b32 exec_lo, exec_lo, s33
	s_waitcnt lgkmcnt(0)
	s_waitcnt_vscnt null, 0x0
	s_barrier
	buffer_gl0_inv
	ds_load_b128 v[0:3], v255 offset:7488
	ds_load_b128 v[4:7], v255 offset:14976
	;; [unrolled: 1-line block ×8, first 2 shown]
	s_mov_b32 s0, 0xe8584caa
	s_mov_b32 s1, 0xbfebb67a
	;; [unrolled: 1-line block ×4, first 2 shown]
	s_waitcnt lgkmcnt(7)
	v_mul_f64 v[32:33], v[143:144], v[2:3]
	v_mul_f64 v[34:35], v[143:144], v[0:1]
	s_waitcnt lgkmcnt(6)
	v_mul_f64 v[36:37], v[147:148], v[6:7]
	v_mul_f64 v[38:39], v[147:148], v[4:5]
	s_waitcnt lgkmcnt(5)
	v_mul_f64 v[40:41], v[155:156], v[10:11]
	v_mul_f64 v[42:43], v[155:156], v[8:9]
	s_waitcnt lgkmcnt(4)
	v_mul_f64 v[44:45], v[151:152], v[14:15]
	v_mul_f64 v[46:47], v[151:152], v[12:13]
	s_waitcnt lgkmcnt(3)
	v_mul_f64 v[48:49], v[159:160], v[18:19]
	v_mul_f64 v[50:51], v[159:160], v[16:17]
	s_waitcnt lgkmcnt(2)
	v_mul_f64 v[52:53], v[163:164], v[22:23]
	v_mul_f64 v[54:55], v[163:164], v[20:21]
	s_waitcnt lgkmcnt(1)
	v_mul_f64 v[56:57], v[248:249], v[26:27]
	v_mul_f64 v[58:59], v[248:249], v[24:25]
	s_waitcnt lgkmcnt(0)
	v_mul_f64 v[60:61], v[167:168], v[30:31]
	v_mul_f64 v[62:63], v[167:168], v[28:29]
	v_fma_f64 v[32:33], v[141:142], v[0:1], v[32:33]
	v_fma_f64 v[34:35], v[141:142], v[2:3], -v[34:35]
	v_fma_f64 v[36:37], v[145:146], v[4:5], v[36:37]
	v_fma_f64 v[38:39], v[145:146], v[6:7], -v[38:39]
	;; [unrolled: 2-line block ×8, first 2 shown]
	ds_load_b128 v[0:3], v255
	ds_load_b128 v[4:7], v255 offset:1872
	ds_load_b128 v[8:11], v255 offset:3744
	ds_load_b128 v[12:15], v255 offset:5616
	s_waitcnt lgkmcnt(0)
	s_barrier
	buffer_gl0_inv
	v_add_f64 v[64:65], v[0:1], v[32:33]
	v_add_f64 v[48:49], v[32:33], v[36:37]
	;; [unrolled: 1-line block ×3, first 2 shown]
	v_add_f64 v[66:67], v[34:35], -v[38:39]
	v_add_f64 v[34:35], v[2:3], v[34:35]
	v_add_f64 v[52:53], v[40:41], v[44:45]
	;; [unrolled: 1-line block ×3, first 2 shown]
	v_add_f64 v[32:33], v[32:33], -v[36:37]
	v_add_f64 v[72:73], v[8:9], v[16:17]
	v_add_f64 v[56:57], v[16:17], v[20:21]
	v_add_f64 v[58:59], v[18:19], v[22:23]
	v_add_f64 v[74:75], v[10:11], v[18:19]
	v_add_f64 v[68:69], v[4:5], v[40:41]
	v_add_f64 v[60:61], v[24:25], v[28:29]
	v_add_f64 v[62:63], v[26:27], v[30:31]
	v_add_f64 v[70:71], v[6:7], v[42:43]
	v_add_f64 v[42:43], v[42:43], -v[46:47]
	v_add_f64 v[40:41], v[40:41], -v[44:45]
	v_add_f64 v[76:77], v[12:13], v[24:25]
	v_add_f64 v[78:79], v[14:15], v[26:27]
	v_add_f64 v[80:81], v[18:19], -v[22:23]
	v_add_f64 v[82:83], v[16:17], -v[20:21]
	v_add_f64 v[84:85], v[26:27], -v[30:31]
	v_add_f64 v[86:87], v[24:25], -v[28:29]
	v_fma_f64 v[48:49], v[48:49], -0.5, v[0:1]
	v_fma_f64 v[50:51], v[50:51], -0.5, v[2:3]
	v_add_f64 v[0:1], v[64:65], v[36:37]
	v_add_f64 v[2:3], v[34:35], v[38:39]
	v_fma_f64 v[52:53], v[52:53], -0.5, v[4:5]
	v_fma_f64 v[54:55], v[54:55], -0.5, v[6:7]
	;; [unrolled: 1-line block ×4, first 2 shown]
	v_add_f64 v[8:9], v[72:73], v[20:21]
	v_add_f64 v[10:11], v[74:75], v[22:23]
	v_fma_f64 v[60:61], v[60:61], -0.5, v[12:13]
	v_fma_f64 v[62:63], v[62:63], -0.5, v[14:15]
	v_add_f64 v[4:5], v[68:69], v[44:45]
	v_add_f64 v[6:7], v[70:71], v[46:47]
	;; [unrolled: 1-line block ×4, first 2 shown]
	v_fma_f64 v[16:17], v[66:67], s[0:1], v[48:49]
	v_fma_f64 v[18:19], v[32:33], s[8:9], v[50:51]
	;; [unrolled: 1-line block ×16, first 2 shown]
	ds_store_b128 v255, v[0:3]
	ds_store_b128 v255, v[16:19] offset:2496
	ds_store_b128 v255, v[20:23] offset:4992
	ds_store_b128 v217, v[4:7]
	ds_store_b128 v217, v[24:27] offset:2496
	ds_store_b128 v217, v[28:31] offset:4992
	;; [unrolled: 3-line block ×3, first 2 shown]
	ds_store_b128 v254, v[12:15] offset:14976
	ds_store_b128 v254, v[56:59] offset:17472
	;; [unrolled: 1-line block ×3, first 2 shown]
	s_waitcnt lgkmcnt(0)
	s_barrier
	buffer_gl0_inv
	ds_load_b128 v[0:3], v255 offset:7488
	ds_load_b128 v[4:7], v255 offset:14976
	ds_load_b128 v[8:11], v255 offset:9360
	ds_load_b128 v[12:15], v255 offset:16848
	ds_load_b128 v[16:19], v255 offset:11232
	ds_load_b128 v[20:23], v255 offset:18720
	ds_load_b128 v[24:27], v255 offset:13104
	ds_load_b128 v[28:31], v255 offset:20592
	s_waitcnt lgkmcnt(7)
	v_mul_f64 v[32:33], v[182:183], v[2:3]
	v_mul_f64 v[34:35], v[182:183], v[0:1]
	s_waitcnt lgkmcnt(6)
	v_mul_f64 v[36:37], v[178:179], v[6:7]
	v_mul_f64 v[38:39], v[178:179], v[4:5]
	;; [unrolled: 3-line block ×4, first 2 shown]
	s_waitcnt lgkmcnt(3)
	v_mul_f64 v[48:49], v[194:195], v[18:19]
	s_waitcnt lgkmcnt(2)
	v_mul_f64 v[50:51], v[198:199], v[22:23]
	v_mul_f64 v[52:53], v[194:195], v[16:17]
	;; [unrolled: 1-line block ×3, first 2 shown]
	s_waitcnt lgkmcnt(1)
	v_mul_f64 v[56:57], v[206:207], v[26:27]
	v_mul_f64 v[58:59], v[206:207], v[24:25]
	s_waitcnt lgkmcnt(0)
	v_mul_f64 v[60:61], v[202:203], v[30:31]
	v_mul_f64 v[62:63], v[202:203], v[28:29]
	v_fma_f64 v[32:33], v[180:181], v[0:1], v[32:33]
	v_fma_f64 v[34:35], v[180:181], v[2:3], -v[34:35]
	v_fma_f64 v[36:37], v[176:177], v[4:5], v[36:37]
	v_fma_f64 v[38:39], v[176:177], v[6:7], -v[38:39]
	;; [unrolled: 2-line block ×4, first 2 shown]
	v_fma_f64 v[16:17], v[192:193], v[16:17], v[48:49]
	v_fma_f64 v[20:21], v[196:197], v[20:21], v[50:51]
	v_fma_f64 v[18:19], v[192:193], v[18:19], -v[52:53]
	v_fma_f64 v[22:23], v[196:197], v[22:23], -v[54:55]
	v_fma_f64 v[24:25], v[204:205], v[24:25], v[56:57]
	v_fma_f64 v[26:27], v[204:205], v[26:27], -v[58:59]
	v_fma_f64 v[28:29], v[200:201], v[28:29], v[60:61]
	v_fma_f64 v[30:31], v[200:201], v[30:31], -v[62:63]
	ds_load_b128 v[0:3], v255
	ds_load_b128 v[4:7], v255 offset:1872
	ds_load_b128 v[8:11], v255 offset:3744
	;; [unrolled: 1-line block ×3, first 2 shown]
	s_waitcnt lgkmcnt(3)
	v_add_f64 v[64:65], v[0:1], v[32:33]
	v_add_f64 v[48:49], v[32:33], v[36:37]
	v_add_f64 v[50:51], v[34:35], v[38:39]
	v_add_f64 v[66:67], v[34:35], -v[38:39]
	v_add_f64 v[34:35], v[2:3], v[34:35]
	v_add_f64 v[52:53], v[40:41], v[44:45]
	v_add_f64 v[54:55], v[42:43], v[46:47]
	s_waitcnt lgkmcnt(2)
	v_add_f64 v[68:69], v[4:5], v[40:41]
	v_add_f64 v[56:57], v[16:17], v[20:21]
	v_add_f64 v[70:71], v[6:7], v[42:43]
	v_add_f64 v[58:59], v[18:19], v[22:23]
	s_waitcnt lgkmcnt(1)
	v_add_f64 v[72:73], v[8:9], v[16:17]
	;; [unrolled: 5-line block ×3, first 2 shown]
	v_add_f64 v[78:79], v[14:15], v[26:27]
	v_add_f64 v[32:33], v[32:33], -v[36:37]
	v_add_f64 v[42:43], v[42:43], -v[46:47]
	;; [unrolled: 1-line block ×7, first 2 shown]
	v_fma_f64 v[48:49], v[48:49], -0.5, v[0:1]
	v_fma_f64 v[50:51], v[50:51], -0.5, v[2:3]
	v_add_f64 v[0:1], v[64:65], v[36:37]
	v_add_f64 v[2:3], v[34:35], v[38:39]
	v_fma_f64 v[52:53], v[52:53], -0.5, v[4:5]
	v_fma_f64 v[54:55], v[54:55], -0.5, v[6:7]
	v_add_f64 v[4:5], v[68:69], v[44:45]
	v_fma_f64 v[56:57], v[56:57], -0.5, v[8:9]
	v_add_f64 v[6:7], v[70:71], v[46:47]
	;; [unrolled: 2-line block ×3, first 2 shown]
	v_add_f64 v[10:11], v[74:75], v[22:23]
	v_fma_f64 v[60:61], v[60:61], -0.5, v[12:13]
	v_fma_f64 v[62:63], v[62:63], -0.5, v[14:15]
	v_add_f64 v[12:13], v[76:77], v[28:29]
	v_add_f64 v[14:15], v[78:79], v[30:31]
	v_mad_u64_u32 v[34:35], null, s4, v214, 0
	v_fma_f64 v[16:17], v[66:67], s[0:1], v[48:49]
	v_fma_f64 v[18:19], v[32:33], s[8:9], v[50:51]
	;; [unrolled: 1-line block ×3, first 2 shown]
	scratch_load_b64 v[32:33], off, off offset:64 ; 8-byte Folded Reload
	v_fma_f64 v[24:25], v[42:43], s[0:1], v[52:53]
	v_fma_f64 v[26:27], v[40:41], s[8:9], v[54:55]
	;; [unrolled: 1-line block ×13, first 2 shown]
	s_mul_i32 s8, s5, 0x2be0
	s_mul_hi_u32 s9, s4, 0x2be0
	s_mul_i32 s0, s4, 0x2be0
	s_mul_i32 s1, s4, 0xffffdb70
	ds_store_b128 v255, v[0:3]
	ds_store_b128 v255, v[4:7] offset:1872
	ds_store_b128 v255, v[8:11] offset:3744
	;; [unrolled: 1-line block ×11, first 2 shown]
	s_waitcnt vmcnt(0) lgkmcnt(0)
	s_barrier
	buffer_gl0_inv
	ds_load_b128 v[0:3], v255
	ds_load_b128 v[8:11], v255 offset:1872
	ds_load_b128 v[4:7], v255 offset:11232
	;; [unrolled: 1-line block ×11, first 2 shown]
	s_clause 0x3
	scratch_load_b128 v[104:107], off, off offset:16
	scratch_load_b128 v[114:117], off, off offset:88
	;; [unrolled: 1-line block ×4, first 2 shown]
	v_mov_b32_e32 v38, v32
	s_delay_alu instid0(VALU_DEP_1) | instskip(SKIP_1) | instid1(VALU_DEP_1)
	v_mad_u64_u32 v[32:33], null, s6, v38, 0
	s_mul_i32 s6, s5, 0xffffdb70
	v_mad_u64_u32 v[36:37], null, s7, v38, v[33:34]
	v_mov_b32_e32 v33, v35
	s_mul_hi_u32 s7, s4, 0xffffdb70
	s_delay_alu instid0(VALU_DEP_1) | instskip(NEXT) | instid1(VALU_DEP_3)
	v_mad_u64_u32 v[37:38], null, s5, v214, v[33:34]
	v_mov_b32_e32 v33, v36
	s_add_i32 s5, s9, s8
	s_delay_alu instid0(VALU_DEP_1) | instskip(NEXT) | instid1(VALU_DEP_3)
	v_lshlrev_b64 v[32:33], 4, v[32:33]
	v_mov_b32_e32 v35, v37
	s_delay_alu instid0(VALU_DEP_2) | instskip(NEXT) | instid1(VALU_DEP_3)
	v_add_co_u32 v98, vcc_lo, s2, v32
	v_add_co_ci_u32_e32 v99, vcc_lo, s3, v33, vcc_lo
	s_delay_alu instid0(VALU_DEP_3) | instskip(SKIP_1) | instid1(SALU_CYCLE_1)
	v_lshlrev_b64 v[34:35], 4, v[34:35]
	s_sub_i32 s2, s7, s4
	s_add_i32 s4, s2, s6
	s_mov_b32 s2, 0xc201756d
	s_mov_b32 s3, 0x3f4756ca
	s_delay_alu instid0(VALU_DEP_1) | instskip(SKIP_1) | instid1(VALU_DEP_2)
	v_add_co_u32 v98, vcc_lo, v98, v34
	v_add_co_ci_u32_e32 v99, vcc_lo, v99, v35, vcc_lo
	v_add_co_u32 v100, vcc_lo, v98, s0
	s_waitcnt vmcnt(3) lgkmcnt(11)
	v_mul_f64 v[32:33], v[106:107], v[2:3]
	v_mul_f64 v[36:37], v[106:107], v[0:1]
	scratch_load_b128 v[106:109], off, off offset:32 ; 16-byte Folded Reload
	s_waitcnt vmcnt(2) lgkmcnt(6)
	v_mul_f64 v[74:75], v[128:129], v[22:23]
	v_mul_f64 v[76:77], v[128:129], v[20:21]
	scratch_load_b128 v[128:131], off, off offset:168 ; 16-byte Folded Reload
	s_waitcnt vmcnt(2)
	v_mul_f64 v[38:39], v[120:121], v[6:7]
	v_mul_f64 v[40:41], v[120:121], v[4:5]
	;; [unrolled: 1-line block ×4, first 2 shown]
	v_add_co_ci_u32_e32 v101, vcc_lo, s5, v99, vcc_lo
	v_add_co_u32 v102, vcc_lo, v100, s1
	scratch_load_b128 v[120:123], off, off offset:120 ; 16-byte Folded Reload
	v_add_co_ci_u32_e32 v103, vcc_lo, s4, v101, vcc_lo
	v_fma_f64 v[0:1], v[104:105], v[0:1], v[32:33]
	v_fma_f64 v[2:3], v[104:105], v[2:3], -v[36:37]
	v_fma_f64 v[32:33], v[126:127], v[20:21], v[74:75]
	v_fma_f64 v[34:35], v[126:127], v[22:23], -v[76:77]
	;; [unrolled: 2-line block ×4, first 2 shown]
	v_mul_f64 v[0:1], v[0:1], s[2:3]
	v_mul_f64 v[2:3], v[2:3], s[2:3]
	;; [unrolled: 1-line block ×6, first 2 shown]
	s_waitcnt vmcnt(2)
	v_mul_f64 v[42:43], v[108:109], v[10:11]
	v_mul_f64 v[44:45], v[108:109], v[8:9]
	scratch_load_b128 v[108:111], off, off offset:48 ; 16-byte Folded Reload
	s_waitcnt vmcnt(2) lgkmcnt(4)
	v_mul_f64 v[78:79], v[130:131], v[30:31]
	v_mul_f64 v[80:81], v[130:131], v[28:29]
	scratch_load_b128 v[130:133], off, off offset:184 ; 16-byte Folded Reload
	s_waitcnt vmcnt(2) lgkmcnt(3)
	v_mul_f64 v[82:83], v[122:123], v[50:51]
	v_mul_f64 v[84:85], v[122:123], v[48:49]
	scratch_load_b128 v[122:125], off, off offset:136 ; 16-byte Folded Reload
	v_fma_f64 v[8:9], v[106:107], v[8:9], v[42:43]
	v_fma_f64 v[10:11], v[106:107], v[10:11], -v[44:45]
	v_fma_f64 v[28:29], v[128:129], v[28:29], v[78:79]
	v_fma_f64 v[30:31], v[128:129], v[30:31], -v[80:81]
	;; [unrolled: 2-line block ×3, first 2 shown]
	v_mul_f64 v[8:9], v[8:9], s[2:3]
	v_mul_f64 v[10:11], v[10:11], s[2:3]
	;; [unrolled: 1-line block ×4, first 2 shown]
	s_waitcnt vmcnt(2)
	v_mul_f64 v[66:67], v[110:111], v[18:19]
	v_mul_f64 v[68:69], v[110:111], v[16:17]
	scratch_load_b128 v[110:113], off, off offset:72 ; 16-byte Folded Reload
	s_waitcnt vmcnt(2) lgkmcnt(2)
	v_mul_f64 v[90:91], v[132:133], v[54:55]
	v_mul_f64 v[92:93], v[132:133], v[52:53]
	scratch_load_b128 v[132:135], off, off offset:200 ; 16-byte Folded Reload
	s_waitcnt vmcnt(2) lgkmcnt(1)
	v_mul_f64 v[86:87], v[124:125], v[58:59]
	v_mul_f64 v[88:89], v[124:125], v[56:57]
	v_fma_f64 v[16:17], v[108:109], v[16:17], v[66:67]
	v_fma_f64 v[18:19], v[108:109], v[18:19], -v[68:69]
	v_fma_f64 v[44:45], v[130:131], v[52:53], v[90:91]
	v_fma_f64 v[46:47], v[130:131], v[54:55], -v[92:93]
	v_add_co_u32 v52, vcc_lo, v102, s0
	v_add_co_ci_u32_e32 v53, vcc_lo, s5, v103, vcc_lo
	s_delay_alu instid0(VALU_DEP_2) | instskip(NEXT) | instid1(VALU_DEP_2)
	v_add_co_u32 v54, vcc_lo, v52, s1
	v_add_co_ci_u32_e32 v55, vcc_lo, s4, v53, vcc_lo
	v_fma_f64 v[40:41], v[122:123], v[56:57], v[86:87]
	v_fma_f64 v[42:43], v[122:123], v[58:59], -v[88:89]
	s_delay_alu instid0(VALU_DEP_4) | instskip(NEXT) | instid1(VALU_DEP_4)
	v_add_co_u32 v56, vcc_lo, v54, s0
	v_add_co_ci_u32_e32 v57, vcc_lo, s5, v55, vcc_lo
	v_mul_f64 v[16:17], v[16:17], s[2:3]
	v_mul_f64 v[18:19], v[18:19], s[2:3]
	s_waitcnt vmcnt(1)
	v_mul_f64 v[70:71], v[112:113], v[26:27]
	v_mul_f64 v[72:73], v[112:113], v[24:25]
	s_waitcnt vmcnt(0) lgkmcnt(0)
	v_mul_f64 v[94:95], v[134:135], v[62:63]
	v_mul_f64 v[96:97], v[134:135], v[60:61]
	s_delay_alu instid0(VALU_DEP_4) | instskip(NEXT) | instid1(VALU_DEP_4)
	v_fma_f64 v[24:25], v[110:111], v[24:25], v[70:71]
	v_fma_f64 v[26:27], v[110:111], v[26:27], -v[72:73]
	s_delay_alu instid0(VALU_DEP_4) | instskip(NEXT) | instid1(VALU_DEP_4)
	v_fma_f64 v[48:49], v[132:133], v[60:61], v[94:95]
	v_fma_f64 v[50:51], v[132:133], v[62:63], -v[96:97]
	s_delay_alu instid0(VALU_DEP_4) | instskip(NEXT) | instid1(VALU_DEP_4)
	v_mul_f64 v[20:21], v[24:25], s[2:3]
	v_mul_f64 v[22:23], v[26:27], s[2:3]
	;; [unrolled: 1-line block ×12, first 2 shown]
	v_add_co_u32 v48, vcc_lo, v56, s1
	v_add_co_ci_u32_e32 v49, vcc_lo, s4, v57, vcc_lo
	s_delay_alu instid0(VALU_DEP_2) | instskip(NEXT) | instid1(VALU_DEP_2)
	v_add_co_u32 v50, vcc_lo, v48, s0
	v_add_co_ci_u32_e32 v51, vcc_lo, s5, v49, vcc_lo
	s_delay_alu instid0(VALU_DEP_2) | instskip(NEXT) | instid1(VALU_DEP_2)
	;; [unrolled: 3-line block ×5, first 2 shown]
	v_add_co_u32 v64, vcc_lo, v62, s0
	v_add_co_ci_u32_e32 v65, vcc_lo, s5, v63, vcc_lo
	s_clause 0x4
	global_store_b128 v[98:99], v[0:3], off
	global_store_b128 v[100:101], v[4:7], off
	;; [unrolled: 1-line block ×12, first 2 shown]
.LBB0_10:
	s_nop 0
	s_sendmsg sendmsg(MSG_DEALLOC_VGPRS)
	s_endpgm
	.section	.rodata,"a",@progbits
	.p2align	6, 0x0
	.amdhsa_kernel bluestein_single_back_len1404_dim1_dp_op_CI_CI
		.amdhsa_group_segment_fixed_size 22464
		.amdhsa_private_segment_fixed_size 524
		.amdhsa_kernarg_size 104
		.amdhsa_user_sgpr_count 15
		.amdhsa_user_sgpr_dispatch_ptr 0
		.amdhsa_user_sgpr_queue_ptr 0
		.amdhsa_user_sgpr_kernarg_segment_ptr 1
		.amdhsa_user_sgpr_dispatch_id 0
		.amdhsa_user_sgpr_private_segment_size 0
		.amdhsa_wavefront_size32 1
		.amdhsa_uses_dynamic_stack 0
		.amdhsa_enable_private_segment 1
		.amdhsa_system_sgpr_workgroup_id_x 1
		.amdhsa_system_sgpr_workgroup_id_y 0
		.amdhsa_system_sgpr_workgroup_id_z 0
		.amdhsa_system_sgpr_workgroup_info 0
		.amdhsa_system_vgpr_workitem_id 0
		.amdhsa_next_free_vgpr 256
		.amdhsa_next_free_sgpr 48
		.amdhsa_reserve_vcc 1
		.amdhsa_float_round_mode_32 0
		.amdhsa_float_round_mode_16_64 0
		.amdhsa_float_denorm_mode_32 3
		.amdhsa_float_denorm_mode_16_64 3
		.amdhsa_dx10_clamp 1
		.amdhsa_ieee_mode 1
		.amdhsa_fp16_overflow 0
		.amdhsa_workgroup_processor_mode 1
		.amdhsa_memory_ordered 1
		.amdhsa_forward_progress 0
		.amdhsa_shared_vgpr_count 0
		.amdhsa_exception_fp_ieee_invalid_op 0
		.amdhsa_exception_fp_denorm_src 0
		.amdhsa_exception_fp_ieee_div_zero 0
		.amdhsa_exception_fp_ieee_overflow 0
		.amdhsa_exception_fp_ieee_underflow 0
		.amdhsa_exception_fp_ieee_inexact 0
		.amdhsa_exception_int_div_zero 0
	.end_amdhsa_kernel
	.text
.Lfunc_end0:
	.size	bluestein_single_back_len1404_dim1_dp_op_CI_CI, .Lfunc_end0-bluestein_single_back_len1404_dim1_dp_op_CI_CI
                                        ; -- End function
	.section	.AMDGPU.csdata,"",@progbits
; Kernel info:
; codeLenInByte = 24128
; NumSgprs: 50
; NumVgprs: 256
; ScratchSize: 524
; MemoryBound: 0
; FloatMode: 240
; IeeeMode: 1
; LDSByteSize: 22464 bytes/workgroup (compile time only)
; SGPRBlocks: 6
; VGPRBlocks: 31
; NumSGPRsForWavesPerEU: 50
; NumVGPRsForWavesPerEU: 256
; Occupancy: 5
; WaveLimiterHint : 1
; COMPUTE_PGM_RSRC2:SCRATCH_EN: 1
; COMPUTE_PGM_RSRC2:USER_SGPR: 15
; COMPUTE_PGM_RSRC2:TRAP_HANDLER: 0
; COMPUTE_PGM_RSRC2:TGID_X_EN: 1
; COMPUTE_PGM_RSRC2:TGID_Y_EN: 0
; COMPUTE_PGM_RSRC2:TGID_Z_EN: 0
; COMPUTE_PGM_RSRC2:TIDIG_COMP_CNT: 0
	.text
	.p2alignl 7, 3214868480
	.fill 96, 4, 3214868480
	.type	__hip_cuid_468bd2923c688537,@object ; @__hip_cuid_468bd2923c688537
	.section	.bss,"aw",@nobits
	.globl	__hip_cuid_468bd2923c688537
__hip_cuid_468bd2923c688537:
	.byte	0                               ; 0x0
	.size	__hip_cuid_468bd2923c688537, 1

	.ident	"AMD clang version 19.0.0git (https://github.com/RadeonOpenCompute/llvm-project roc-6.4.0 25133 c7fe45cf4b819c5991fe208aaa96edf142730f1d)"
	.section	".note.GNU-stack","",@progbits
	.addrsig
	.addrsig_sym __hip_cuid_468bd2923c688537
	.amdgpu_metadata
---
amdhsa.kernels:
  - .args:
      - .actual_access:  read_only
        .address_space:  global
        .offset:         0
        .size:           8
        .value_kind:     global_buffer
      - .actual_access:  read_only
        .address_space:  global
        .offset:         8
        .size:           8
        .value_kind:     global_buffer
      - .actual_access:  read_only
        .address_space:  global
        .offset:         16
        .size:           8
        .value_kind:     global_buffer
      - .actual_access:  read_only
        .address_space:  global
        .offset:         24
        .size:           8
        .value_kind:     global_buffer
      - .actual_access:  read_only
        .address_space:  global
        .offset:         32
        .size:           8
        .value_kind:     global_buffer
      - .offset:         40
        .size:           8
        .value_kind:     by_value
      - .address_space:  global
        .offset:         48
        .size:           8
        .value_kind:     global_buffer
      - .address_space:  global
        .offset:         56
        .size:           8
        .value_kind:     global_buffer
      - .address_space:  global
        .offset:         64
        .size:           8
        .value_kind:     global_buffer
      - .address_space:  global
        .offset:         72
        .size:           8
        .value_kind:     global_buffer
      - .offset:         80
        .size:           4
        .value_kind:     by_value
      - .address_space:  global
        .offset:         88
        .size:           8
        .value_kind:     global_buffer
      - .address_space:  global
        .offset:         96
        .size:           8
        .value_kind:     global_buffer
    .group_segment_fixed_size: 22464
    .kernarg_segment_align: 8
    .kernarg_segment_size: 104
    .language:       OpenCL C
    .language_version:
      - 2
      - 0
    .max_flat_workgroup_size: 117
    .name:           bluestein_single_back_len1404_dim1_dp_op_CI_CI
    .private_segment_fixed_size: 524
    .sgpr_count:     50
    .sgpr_spill_count: 0
    .symbol:         bluestein_single_back_len1404_dim1_dp_op_CI_CI.kd
    .uniform_work_group_size: 1
    .uses_dynamic_stack: false
    .vgpr_count:     256
    .vgpr_spill_count: 142
    .wavefront_size: 32
    .workgroup_processor_mode: 1
amdhsa.target:   amdgcn-amd-amdhsa--gfx1100
amdhsa.version:
  - 1
  - 2
...

	.end_amdgpu_metadata
